;; amdgpu-corpus repo=ROCm/rocFFT kind=compiled arch=gfx1030 opt=O3
	.text
	.amdgcn_target "amdgcn-amd-amdhsa--gfx1030"
	.amdhsa_code_object_version 6
	.protected	bluestein_single_back_len1785_dim1_dp_op_CI_CI ; -- Begin function bluestein_single_back_len1785_dim1_dp_op_CI_CI
	.globl	bluestein_single_back_len1785_dim1_dp_op_CI_CI
	.p2align	8
	.type	bluestein_single_back_len1785_dim1_dp_op_CI_CI,@function
bluestein_single_back_len1785_dim1_dp_op_CI_CI: ; @bluestein_single_back_len1785_dim1_dp_op_CI_CI
; %bb.0:
	v_mul_u32_u24_e32 v1, 0x227, v0
	s_mov_b64 s[62:63], s[2:3]
	s_mov_b64 s[60:61], s[0:1]
	s_load_dwordx4 s[0:3], s[4:5], 0x28
	s_add_u32 s60, s60, s7
	v_lshrrev_b32_e32 v1, 16, v1
	s_addc_u32 s61, s61, 0
	v_mov_b32_e32 v4, 0
	v_add_nc_u32_e32 v3, s6, v1
	v_mov_b32_e32 v2, v3
	buffer_store_dword v2, off, s[60:63], 0 ; 4-byte Folded Spill
	buffer_store_dword v3, off, s[60:63], 0 offset:4 ; 4-byte Folded Spill
	s_waitcnt lgkmcnt(0)
	v_cmp_gt_u64_e32 vcc_lo, s[0:1], v[3:4]
	s_and_saveexec_b32 s0, vcc_lo
	s_cbranch_execz .LBB0_23
; %bb.1:
	s_clause 0x1
	s_load_dwordx2 s[12:13], s[4:5], 0x0
	s_load_dwordx2 s[14:15], s[4:5], 0x38
	v_mul_lo_u16 v1, 0x77, v1
	v_sub_nc_u16 v0, v0, v1
	v_and_b32_e32 v220, 0xffff, v0
	v_cmp_gt_u16_e32 vcc_lo, 0x69, v0
	v_lshlrev_b32_e32 v80, 4, v220
	s_and_saveexec_b32 s1, vcc_lo
	s_cbranch_execz .LBB0_3
; %bb.2:
	s_load_dwordx2 s[6:7], s[4:5], 0x18
	s_waitcnt lgkmcnt(0)
	v_add_co_u32 v8, s0, s12, v80
	v_add_co_ci_u32_e64 v9, null, s13, 0, s0
	v_add_co_u32 v10, s0, 0x800, v8
	v_add_co_ci_u32_e64 v11, s0, 0, v9, s0
	v_add_co_u32 v14, s0, 0x1000, v8
	v_add_co_ci_u32_e64 v15, s0, 0, v9, s0
	;; [unrolled: 2-line block ×3, first 2 shown]
	v_add_co_u32 v26, s0, 0x2000, v8
	s_load_dwordx4 s[8:11], s[6:7], 0x0
	s_clause 0x1
	global_load_dwordx4 v[0:3], v80, s[12:13]
	global_load_dwordx4 v[4:7], v80, s[12:13] offset:1680
	s_clause 0x1
	buffer_load_dword v12, off, s[60:63], 0
	buffer_load_dword v13, off, s[60:63], 0 offset:4
	v_add_co_ci_u32_e64 v27, s0, 0, v9, s0
	v_add_co_u32 v30, s0, 0x2800, v8
	v_add_co_ci_u32_e64 v31, s0, 0, v9, s0
	v_add_co_u32 v34, s0, 0x3000, v8
	;; [unrolled: 2-line block ×4, first 2 shown]
	v_add_co_ci_u32_e64 v43, s0, 0, v9, s0
	s_waitcnt lgkmcnt(0)
	v_mad_u64_u32 v[32:33], null, s8, v220, 0
	v_add_co_u32 v78, s0, 0x4800, v8
	v_add_co_ci_u32_e64 v79, s0, 0, v9, s0
	s_mul_i32 s6, s9, 0x690
	s_mul_hi_u32 s7, s8, 0x690
	s_waitcnt vmcnt(0)
	v_mov_b32_e32 v13, v33
	s_add_i32 s7, s7, s6
	v_mad_u64_u32 v[24:25], null, s9, v220, v[13:14]
	v_mov_b32_e32 v33, v24
	v_lshlrev_b64 v[32:33], 4, v[32:33]
	v_mov_b32_e32 v16, v12
	v_mad_u64_u32 v[22:23], null, s10, v16, 0
	v_mov_b32_e32 v12, v23
	v_mad_u64_u32 v[16:17], null, s11, v16, v[12:13]
	v_mov_b32_e32 v23, v16
	s_clause 0x2
	global_load_dwordx4 v[10:13], v[10:11], off offset:1312
	global_load_dwordx4 v[14:17], v[14:15], off offset:944
	;; [unrolled: 1-line block ×3, first 2 shown]
	v_lshlrev_b64 v[36:37], 4, v[22:23]
	s_clause 0x3
	global_load_dwordx4 v[22:25], v[26:27], off offset:208
	global_load_dwordx4 v[26:29], v[26:27], off offset:1888
	;; [unrolled: 1-line block ×4, first 2 shown]
	v_add_co_u32 v36, s0, s2, v36
	v_add_co_ci_u32_e64 v37, s0, s3, v37, s0
	s_mul_i32 s2, s8, 0x690
	v_add_co_u32 v46, s0, v36, v32
	v_add_co_ci_u32_e64 v47, s0, v37, v33, s0
	s_clause 0x1
	global_load_dwordx4 v[30:33], v[30:31], off offset:1520
	global_load_dwordx4 v[34:37], v[34:35], off offset:1152
	v_add_co_u32 v50, s0, v46, s2
	v_add_co_ci_u32_e64 v51, s0, s7, v47, s0
	v_add_co_u32 v54, s0, v50, s2
	v_add_co_ci_u32_e64 v55, s0, s7, v51, s0
	s_clause 0x1
	global_load_dwordx4 v[46:49], v[46:47], off
	global_load_dwordx4 v[50:53], v[50:51], off
	v_add_co_u32 v58, s0, v54, s2
	v_add_co_ci_u32_e64 v59, s0, s7, v55, s0
	global_load_dwordx4 v[54:57], v[54:55], off
	v_add_co_u32 v62, s0, v58, s2
	v_add_co_ci_u32_e64 v63, s0, s7, v59, s0
	;; [unrolled: 3-line block ×7, first 2 shown]
	v_add_co_u32 v89, s0, v85, s2
	v_add_co_ci_u32_e64 v90, s0, s7, v86, s0
	v_add_co_u32 v93, s0, v89, s2
	v_add_co_ci_u32_e64 v94, s0, s7, v90, s0
	;; [unrolled: 2-line block ×3, first 2 shown]
	global_load_dwordx4 v[81:84], v[81:82], off
	global_load_dwordx4 v[85:88], v[85:86], off
	;; [unrolled: 1-line block ×5, first 2 shown]
	v_add_co_u32 v109, s0, v101, s2
	v_add_co_ci_u32_e64 v110, s0, s7, v102, s0
	v_add_co_u32 v113, s0, 0x5000, v8
	v_add_co_ci_u32_e64 v114, s0, 0, v9, s0
	;; [unrolled: 2-line block ×3, first 2 shown]
	s_clause 0x1
	global_load_dwordx4 v[101:104], v[78:79], off offset:48
	global_load_dwordx4 v[105:108], v[78:79], off offset:1728
	global_load_dwordx4 v[109:112], v[109:110], off
	global_load_dwordx4 v[113:116], v[113:114], off offset:1360
	global_load_dwordx4 v[117:120], v[121:122], off
	v_add_co_u32 v78, s0, 0x5800, v8
	v_add_co_ci_u32_e64 v79, s0, 0, v9, s0
	v_add_co_u32 v125, s0, v121, s2
	v_add_co_ci_u32_e64 v126, s0, s7, v122, s0
	;; [unrolled: 2-line block ×5, first 2 shown]
	global_load_dwordx4 v[121:124], v[78:79], off offset:992
	global_load_dwordx4 v[125:128], v[125:126], off
	s_clause 0x1
	global_load_dwordx4 v[129:132], v[129:130], off offset:624
	global_load_dwordx4 v[133:136], v[8:9], off offset:256
	global_load_dwordx4 v[137:140], v[137:138], off
	s_waitcnt vmcnt(22)
	v_mul_f64 v[8:9], v[48:49], v[2:3]
	v_mul_f64 v[2:3], v[46:47], v[2:3]
	s_waitcnt vmcnt(21)
	v_mul_f64 v[78:79], v[52:53], v[6:7]
	v_mul_f64 v[141:142], v[50:51], v[6:7]
	;; [unrolled: 3-line block ×6, first 2 shown]
	v_fma_f64 v[6:7], v[46:47], v[0:1], v[8:9]
	v_fma_f64 v[8:9], v[48:49], v[0:1], -v[2:3]
	v_fma_f64 v[0:1], v[50:51], v[4:5], v[78:79]
	v_fma_f64 v[2:3], v[52:53], v[4:5], -v[141:142]
	s_waitcnt vmcnt(16)
	v_mul_f64 v[4:5], v[72:73], v[28:29]
	v_mul_f64 v[28:29], v[70:71], v[28:29]
	v_fma_f64 v[46:47], v[54:55], v[10:11], v[143:144]
	v_fma_f64 v[48:49], v[56:57], v[10:11], -v[12:13]
	s_waitcnt vmcnt(15)
	v_mul_f64 v[50:51], v[76:77], v[32:33]
	v_mul_f64 v[32:33], v[74:75], v[32:33]
	v_fma_f64 v[10:11], v[58:59], v[14:15], v[145:146]
	v_fma_f64 v[12:13], v[60:61], v[14:15], -v[16:17]
	v_fma_f64 v[14:15], v[62:63], v[18:19], v[147:148]
	v_fma_f64 v[16:17], v[64:65], v[18:19], -v[20:21]
	;; [unrolled: 2-line block ×3, first 2 shown]
	s_waitcnt vmcnt(14)
	v_mul_f64 v[52:53], v[83:84], v[36:37]
	v_mul_f64 v[36:37], v[81:82], v[36:37]
	s_waitcnt vmcnt(13)
	v_mul_f64 v[54:55], v[87:88], v[40:41]
	v_mul_f64 v[40:41], v[85:86], v[40:41]
	s_waitcnt vmcnt(12)
	v_mul_f64 v[56:57], v[91:92], v[44:45]
	v_mul_f64 v[44:45], v[89:90], v[44:45]
	v_fma_f64 v[22:23], v[70:71], v[26:27], v[4:5]
	v_fma_f64 v[24:25], v[72:73], v[26:27], -v[28:29]
	v_fma_f64 v[26:27], v[74:75], v[30:31], v[50:51]
	v_fma_f64 v[28:29], v[76:77], v[30:31], -v[32:33]
	s_waitcnt vmcnt(9)
	v_mul_f64 v[58:59], v[95:96], v[103:104]
	v_mul_f64 v[60:61], v[93:94], v[103:104]
	s_waitcnt vmcnt(8)
	v_mul_f64 v[62:63], v[99:100], v[107:108]
	v_mul_f64 v[64:65], v[97:98], v[107:108]
	;; [unrolled: 3-line block ×3, first 2 shown]
	v_fma_f64 v[30:31], v[81:82], v[34:35], v[52:53]
	v_fma_f64 v[32:33], v[83:84], v[34:35], -v[36:37]
	v_fma_f64 v[34:35], v[85:86], v[38:39], v[54:55]
	v_fma_f64 v[36:37], v[87:88], v[38:39], -v[40:41]
	;; [unrolled: 2-line block ×3, first 2 shown]
	s_waitcnt vmcnt(4)
	v_mul_f64 v[78:79], v[119:120], v[123:124]
	v_mul_f64 v[103:104], v[117:118], v[123:124]
	s_waitcnt vmcnt(2)
	v_mul_f64 v[107:108], v[127:128], v[131:132]
	v_mul_f64 v[115:116], v[125:126], v[131:132]
	;; [unrolled: 3-line block ×3, first 2 shown]
	v_fma_f64 v[42:43], v[93:94], v[101:102], v[58:59]
	v_fma_f64 v[44:45], v[95:96], v[101:102], -v[60:61]
	v_fma_f64 v[50:51], v[97:98], v[105:106], v[62:63]
	v_fma_f64 v[52:53], v[99:100], v[105:106], -v[64:65]
	;; [unrolled: 2-line block ×6, first 2 shown]
	ds_write_b128 v80, v[6:9]
	ds_write_b128 v80, v[0:3] offset:1680
	ds_write_b128 v80, v[46:49] offset:3360
	;; [unrolled: 1-line block ×16, first 2 shown]
.LBB0_3:
	s_or_b32 exec_lo, exec_lo, s1
	s_clause 0x1
	s_load_dwordx2 s[0:1], s[4:5], 0x20
	s_load_dwordx2 s[2:3], s[4:5], 0x8
	s_waitcnt lgkmcnt(0)
	s_waitcnt_vscnt null, 0x0
	s_barrier
	buffer_gl0_inv
                                        ; implicit-def: $vgpr20_vgpr21
                                        ; implicit-def: $vgpr64_vgpr65
                                        ; implicit-def: $vgpr60_vgpr61
                                        ; implicit-def: $vgpr56_vgpr57
                                        ; implicit-def: $vgpr52_vgpr53
                                        ; implicit-def: $vgpr48_vgpr49
                                        ; implicit-def: $vgpr44_vgpr45
                                        ; implicit-def: $vgpr40_vgpr41
                                        ; implicit-def: $vgpr36_vgpr37
                                        ; implicit-def: $vgpr32_vgpr33
                                        ; implicit-def: $vgpr28_vgpr29
                                        ; implicit-def: $vgpr24_vgpr25
                                        ; implicit-def: $vgpr16_vgpr17
                                        ; implicit-def: $vgpr12_vgpr13
                                        ; implicit-def: $vgpr8_vgpr9
                                        ; implicit-def: $vgpr4_vgpr5
                                        ; implicit-def: $vgpr0_vgpr1
	s_and_saveexec_b32 s4, vcc_lo
	s_cbranch_execz .LBB0_5
; %bb.4:
	ds_read_b128 v[20:23], v80
	ds_read_b128 v[64:67], v80 offset:1680
	ds_read_b128 v[60:63], v80 offset:3360
	;; [unrolled: 1-line block ×16, first 2 shown]
.LBB0_5:
	s_or_b32 exec_lo, exec_lo, s4
	s_waitcnt lgkmcnt(0)
	v_add_f64 v[150:151], v[66:67], -v[2:3]
	v_add_f64 v[126:127], v[64:65], -v[0:1]
	s_mov_b32 s8, 0x5d8e7cdc
	s_mov_b32 s4, 0x2a9d6da3
	;; [unrolled: 1-line block ×4, first 2 shown]
	v_add_f64 v[124:125], v[64:65], v[0:1]
	v_add_f64 v[148:149], v[66:67], v[2:3]
	v_add_f64 v[90:91], v[62:63], -v[6:7]
	v_add_f64 v[76:77], v[60:61], -v[4:5]
	s_mov_b32 s10, 0x370991
	s_mov_b32 s6, 0x75d4884
	;; [unrolled: 1-line block ×6, first 2 shown]
	v_add_f64 v[72:73], v[60:61], v[4:5]
	v_add_f64 v[116:117], v[62:63], v[6:7]
	v_add_f64 v[96:97], v[58:59], -v[10:11]
	v_add_f64 v[88:89], v[56:57], -v[8:9]
	s_mov_b32 s16, 0x3259b75e
	s_mov_b32 s36, 0x7c9e640b
	v_mul_f64 v[156:157], v[150:151], s[8:9]
	v_mul_f64 v[164:165], v[126:127], s[8:9]
	;; [unrolled: 1-line block ×4, first 2 shown]
	s_mov_b32 s24, 0x6c9a05f6
	s_mov_b32 s17, 0x3fb79ee6
	;; [unrolled: 1-line block ×4, first 2 shown]
	v_mul_f64 v[78:79], v[90:91], s[4:5]
	v_mul_f64 v[84:85], v[76:77], s[4:5]
	;; [unrolled: 1-line block ×4, first 2 shown]
	v_add_f64 v[86:87], v[56:57], v[8:9]
	v_add_f64 v[138:139], v[58:59], v[10:11]
	v_add_f64 v[74:75], v[52:53], -v[12:13]
	v_add_f64 v[98:99], v[54:55], -v[14:15]
	s_mov_b32 s28, 0x2b2883cd
	s_mov_b32 s20, 0x6ed5f1bb
	v_mul_f64 v[106:107], v[96:97], s[36:37]
	v_mul_f64 v[112:113], v[88:89], s[36:37]
	;; [unrolled: 1-line block ×4, first 2 shown]
	v_fma_f64 v[68:69], v[124:125], s[10:11], v[156:157]
	v_fma_f64 v[70:71], v[148:149], s[10:11], -v[164:165]
	v_fma_f64 v[81:82], v[124:125], s[6:7], v[170:171]
	v_fma_f64 v[92:93], v[148:149], s[6:7], -v[172:173]
	s_mov_b32 s38, 0xacd6c6b4
	s_mov_b32 s29, 0x3fdc86fa
	;; [unrolled: 1-line block ×4, first 2 shown]
	v_fma_f64 v[100:101], v[72:73], s[6:7], v[78:79]
	v_fma_f64 v[102:103], v[116:117], s[6:7], -v[84:85]
	v_fma_f64 v[104:105], v[72:73], s[16:17], v[242:243]
	v_fma_f64 v[108:109], v[116:117], s[16:17], -v[94:95]
	v_add_f64 v[128:129], v[54:55], v[14:15]
	v_add_f64 v[130:131], v[50:51], -v[18:19]
	v_mul_f64 v[132:133], v[74:75], s[18:19]
	v_mul_f64 v[122:123], v[98:99], s[18:19]
	;; [unrolled: 1-line block ×4, first 2 shown]
	v_fma_f64 v[134:135], v[86:87], s[28:29], v[106:107]
	v_fma_f64 v[136:137], v[138:139], s[28:29], -v[112:113]
	v_fma_f64 v[144:145], v[86:87], s[20:21], v[114:115]
	v_fma_f64 v[146:147], v[138:139], s[20:21], -v[120:121]
	v_add_f64 v[68:69], v[20:21], v[68:69]
	v_add_f64 v[70:71], v[22:23], v[70:71]
	;; [unrolled: 1-line block ×5, first 2 shown]
	v_add_f64 v[92:93], v[48:49], -v[16:17]
	s_mov_b32 s40, 0x7faef3
	s_mov_b32 s30, 0x923c349f
	;; [unrolled: 1-line block ×6, first 2 shown]
	v_add_f64 v[152:153], v[50:51], v[18:19]
	v_add_f64 v[168:169], v[46:47], -v[26:27]
	v_mul_f64 v[154:155], v[130:131], s[30:31]
	v_mul_f64 v[160:161], v[130:131], s[22:23]
	s_mov_b32 s42, 0xc61f0d01
	v_fma_f64 v[186:187], v[128:129], s[40:41], -v[142:143]
	s_mov_b32 s26, 0x910ea3b9
	s_mov_b32 s43, 0xbfd183b1
	;; [unrolled: 1-line block ×4, first 2 shown]
	v_add_f64 v[68:69], v[100:101], v[68:69]
	v_add_f64 v[70:71], v[102:103], v[70:71]
	v_add_f64 v[100:101], v[104:105], v[110:111]
	v_add_f64 v[102:103], v[108:109], v[118:119]
	v_add_f64 v[104:105], v[48:49], v[16:17]
	v_add_f64 v[118:119], v[44:45], -v[24:25]
	v_mul_f64 v[158:159], v[92:93], s[30:31]
	v_mul_f64 v[166:167], v[92:93], s[22:23]
	v_fma_f64 v[108:109], v[82:83], s[16:17], v[122:123]
	v_fma_f64 v[110:111], v[128:129], s[16:17], -v[132:133]
	v_fma_f64 v[162:163], v[82:83], s[40:41], v[140:141]
	s_mov_b32 s44, s30
	v_add_f64 v[184:185], v[46:47], v[26:27]
	v_add_f64 v[182:183], v[42:43], -v[30:31]
	v_mul_f64 v[174:175], v[168:169], s[24:25]
	v_mul_f64 v[178:179], v[168:169], s[44:45]
	s_mov_b32 s35, 0xbfe0d888
	s_mov_b32 s49, 0x3feca52d
	;; [unrolled: 1-line block ×4, first 2 shown]
	v_add_f64 v[204:205], v[42:43], v[30:31]
	v_add_f64 v[200:201], v[38:39], -v[34:35]
	v_add_f64 v[68:69], v[134:135], v[68:69]
	v_add_f64 v[70:71], v[136:137], v[70:71]
	;; [unrolled: 1-line block ×5, first 2 shown]
	v_add_f64 v[134:135], v[40:41], -v[28:29]
	v_mul_f64 v[176:177], v[118:119], s[24:25]
	v_mul_f64 v[180:181], v[118:119], s[44:45]
	v_fma_f64 v[188:189], v[104:105], s[42:43], v[154:155]
	v_fma_f64 v[192:193], v[152:153], s[42:43], -v[158:159]
	v_fma_f64 v[196:197], v[104:105], s[26:27], v[160:161]
	v_fma_f64 v[202:203], v[152:153], s[26:27], -v[166:167]
	v_add_f64 v[146:147], v[40:41], v[28:29]
	v_add_f64 v[144:145], v[36:37], -v[32:33]
	v_mul_f64 v[194:195], v[182:183], s[48:49]
	s_mov_b32 s47, 0x3fd71e95
	s_mov_b32 s46, s8
	v_add_f64 v[206:207], v[38:39], v[34:35]
	s_barrier
	buffer_gl0_inv
	v_add_f64 v[68:69], v[108:109], v[68:69]
	v_add_f64 v[70:71], v[110:111], v[70:71]
	;; [unrolled: 1-line block ×4, first 2 shown]
	v_mul_f64 v[186:187], v[182:183], s[34:35]
	v_mul_f64 v[190:191], v[134:135], s[34:35]
	;; [unrolled: 1-line block ×3, first 2 shown]
	v_fma_f64 v[108:109], v[136:137], s[20:21], v[174:175]
	v_fma_f64 v[110:111], v[184:185], s[20:21], -v[176:177]
	v_fma_f64 v[208:209], v[136:137], s[42:43], v[178:179]
	v_fma_f64 v[210:211], v[184:185], s[42:43], -v[180:181]
	v_add_f64 v[162:163], v[36:37], v[32:33]
	v_fma_f64 v[216:217], v[146:147], s[28:29], v[194:195]
	v_add_f64 v[68:69], v[188:189], v[68:69]
	v_add_f64 v[70:71], v[192:193], v[70:71]
	;; [unrolled: 1-line block ×4, first 2 shown]
	v_mul_f64 v[188:189], v[200:201], s[38:39]
	v_mul_f64 v[192:193], v[144:145], s[38:39]
	;; [unrolled: 1-line block ×4, first 2 shown]
	v_fma_f64 v[212:213], v[146:147], s[26:27], v[186:187]
	v_fma_f64 v[214:215], v[204:205], s[26:27], -v[190:191]
	v_fma_f64 v[218:219], v[204:205], s[28:29], -v[198:199]
	v_add_f64 v[68:69], v[108:109], v[68:69]
	v_add_f64 v[70:71], v[110:111], v[70:71]
	;; [unrolled: 1-line block ×4, first 2 shown]
	v_fma_f64 v[108:109], v[162:163], s[40:41], v[188:189]
	v_fma_f64 v[110:111], v[206:207], s[40:41], -v[192:193]
	v_fma_f64 v[208:209], v[162:163], s[10:11], v[196:197]
	v_fma_f64 v[210:211], v[206:207], s[10:11], -v[202:203]
	v_add_f64 v[68:69], v[212:213], v[68:69]
	v_add_f64 v[70:71], v[214:215], v[70:71]
	;; [unrolled: 1-line block ×8, first 2 shown]
	s_mov_b32 s33, exec_lo
	s_and_b32 s50, s33, vcc_lo
	buffer_store_dword v220, off, s[60:63], 0 offset:8 ; 4-byte Folded Spill
	s_mov_b32 exec_lo, s50
	s_cbranch_execz .LBB0_7
; %bb.6:
	v_mul_f64 v[208:209], v[148:149], s[40:41]
	v_mul_f64 v[230:231], v[150:151], s[38:39]
	s_mov_b32 s57, 0x3fc7851a
	s_mov_b32 s56, s38
	v_mul_f64 v[228:229], v[116:117], s[10:11]
	v_mul_f64 v[226:227], v[90:91], s[46:47]
	;; [unrolled: 1-line block ×4, first 2 shown]
	s_mov_b32 s51, 0x3fe58eea
	s_mov_b32 s50, s4
	v_mul_f64 v[218:219], v[128:129], s[6:7]
	v_mul_f64 v[220:221], v[98:99], s[50:51]
	;; [unrolled: 1-line block ×4, first 2 shown]
	s_mov_b32 s55, 0x3fe9895b
	s_mov_b32 s54, s24
	;; [unrolled: 1-line block ×4, first 2 shown]
	v_add_f64 v[66:67], v[22:23], v[66:67]
	v_add_f64 v[64:65], v[20:21], v[64:65]
	v_mul_f64 v[250:251], v[116:117], s[28:29]
	v_fma_f64 v[68:69], v[126:127], s[56:57], v[208:209]
	v_fma_f64 v[70:71], v[124:125], s[40:41], v[230:231]
	v_fma_f64 v[230:231], v[124:125], s[40:41], -v[230:231]
	v_fma_f64 v[210:211], v[76:77], s[8:9], v[228:229]
	v_fma_f64 v[212:213], v[72:73], s[10:11], v[226:227]
	;; [unrolled: 1-line block ×5, first 2 shown]
	v_fma_f64 v[226:227], v[72:73], s[10:11], -v[226:227]
	v_fma_f64 v[236:237], v[74:75], s[4:5], v[218:219]
	v_fma_f64 v[238:239], v[82:83], s[6:7], v[220:221]
	;; [unrolled: 1-line block ×5, first 2 shown]
	v_fma_f64 v[222:223], v[86:87], s[26:27], -v[222:223]
	v_fma_f64 v[218:219], v[74:75], s[50:51], v[218:219]
	v_fma_f64 v[220:221], v[82:83], s[6:7], -v[220:221]
	v_add_f64 v[252:253], v[66:67], v[62:63]
	v_add_f64 v[254:255], v[64:65], v[60:61]
	v_fma_f64 v[214:215], v[92:93], s[24:25], v[214:215]
	v_fma_f64 v[216:217], v[104:105], s[20:21], -v[216:217]
	v_add_f64 v[68:69], v[22:23], v[68:69]
	v_add_f64 v[70:71], v[20:21], v[70:71]
	;; [unrolled: 1-line block ×5, first 2 shown]
	v_mul_f64 v[212:213], v[184:185], s[28:29]
	v_mul_f64 v[210:211], v[168:169], s[48:49]
	v_add_f64 v[226:227], v[226:227], v[60:61]
	v_add_f64 v[68:69], v[232:233], v[68:69]
	;; [unrolled: 1-line block ×3, first 2 shown]
	v_fma_f64 v[232:233], v[118:119], s[36:37], v[212:213]
	v_fma_f64 v[234:235], v[136:137], s[28:29], v[210:211]
	v_add_f64 v[222:223], v[222:223], v[226:227]
	v_mul_f64 v[226:227], v[128:129], s[20:21]
	v_fma_f64 v[212:213], v[118:119], s[48:49], v[212:213]
	v_fma_f64 v[210:211], v[136:137], s[28:29], -v[210:211]
	v_add_f64 v[236:237], v[236:237], v[68:69]
	v_add_f64 v[238:239], v[238:239], v[70:71]
	v_mul_f64 v[70:71], v[204:205], s[42:43]
	v_mul_f64 v[68:69], v[182:183], s[30:31]
	v_add_f64 v[220:221], v[220:221], v[222:223]
	v_fma_f64 v[222:223], v[74:75], s[24:25], v[226:227]
	v_fma_f64 v[226:227], v[74:75], s[54:55], v[226:227]
	v_add_f64 v[236:237], v[240:241], v[236:237]
	v_add_f64 v[238:239], v[244:245], v[238:239]
	v_fma_f64 v[240:241], v[126:127], s[38:39], v[208:209]
	v_mul_f64 v[208:209], v[206:207], s[16:17]
	v_mul_f64 v[244:245], v[200:201], s[52:53]
	v_fma_f64 v[246:247], v[134:135], s[44:45], v[70:71]
	v_fma_f64 v[248:249], v[146:147], s[42:43], v[68:69]
	v_add_f64 v[216:217], v[216:217], v[220:221]
	v_mul_f64 v[220:221], v[184:185], s[40:41]
	v_fma_f64 v[70:71], v[134:135], s[30:31], v[70:71]
	v_fma_f64 v[68:69], v[146:147], s[42:43], -v[68:69]
	v_add_f64 v[232:233], v[232:233], v[236:237]
	v_add_f64 v[234:235], v[234:235], v[238:239]
	v_mul_f64 v[236:237], v[148:149], s[26:27]
	v_add_f64 v[238:239], v[22:23], v[240:241]
	v_mul_f64 v[240:241], v[150:151], s[34:35]
	v_fma_f64 v[62:63], v[144:145], s[18:19], v[208:209]
	v_fma_f64 v[64:65], v[162:163], s[16:17], v[244:245]
	v_add_f64 v[210:211], v[210:211], v[216:217]
	v_mul_f64 v[216:217], v[204:205], s[6:7]
	v_fma_f64 v[208:209], v[144:145], s[52:53], v[208:209]
	v_fma_f64 v[244:245], v[162:163], s[16:17], -v[244:245]
	v_add_f64 v[66:67], v[246:247], v[232:233]
	v_add_f64 v[230:231], v[248:249], v[234:235]
	v_mul_f64 v[232:233], v[90:91], s[48:49]
	v_fma_f64 v[234:235], v[126:127], s[22:23], v[236:237]
	v_add_f64 v[228:229], v[228:229], v[238:239]
	v_fma_f64 v[238:239], v[124:125], s[26:27], v[240:241]
	v_mul_f64 v[246:247], v[138:139], s[16:17]
	v_fma_f64 v[240:241], v[124:125], s[26:27], -v[240:241]
	v_add_f64 v[68:69], v[68:69], v[210:211]
	v_mul_f64 v[210:211], v[200:201], s[30:31]
	v_fma_f64 v[248:249], v[134:135], s[4:5], v[216:217]
	v_fma_f64 v[216:217], v[134:135], s[50:51], v[216:217]
	v_add_f64 v[62:63], v[62:63], v[66:67]
	v_add_f64 v[60:61], v[64:65], v[230:231]
	v_fma_f64 v[64:65], v[76:77], s[36:37], v[250:251]
	v_add_f64 v[66:67], v[22:23], v[234:235]
	v_fma_f64 v[230:231], v[72:73], s[28:29], v[232:233]
	v_add_f64 v[234:235], v[20:21], v[238:239]
	v_add_f64 v[224:225], v[224:225], v[228:229]
	v_mul_f64 v[228:229], v[96:97], s[18:19]
	v_mul_f64 v[238:239], v[152:153], s[10:11]
	v_fma_f64 v[232:233], v[72:73], s[28:29], -v[232:233]
	v_add_f64 v[240:241], v[20:21], v[240:241]
	v_add_f64 v[64:65], v[64:65], v[66:67]
	v_fma_f64 v[66:67], v[88:89], s[52:53], v[246:247]
	v_add_f64 v[230:231], v[230:231], v[234:235]
	v_add_f64 v[218:219], v[218:219], v[224:225]
	v_fma_f64 v[234:235], v[86:87], s[16:17], v[228:229]
	v_mul_f64 v[224:225], v[98:99], s[54:55]
	v_fma_f64 v[246:247], v[88:89], s[18:19], v[246:247]
	v_add_f64 v[232:233], v[232:233], v[240:241]
	v_mul_f64 v[240:241], v[148:149], s[20:21]
	v_fma_f64 v[228:229], v[86:87], s[16:17], -v[228:229]
	v_add_f64 v[64:65], v[66:67], v[64:65]
	v_fma_f64 v[66:67], v[126:127], s[34:35], v[236:237]
	v_add_f64 v[214:215], v[214:215], v[218:219]
	v_add_f64 v[230:231], v[234:235], v[230:231]
	v_fma_f64 v[234:235], v[82:83], s[20:21], v[224:225]
	v_mul_f64 v[218:219], v[130:131], s[8:9]
	v_fma_f64 v[236:237], v[76:77], s[48:49], v[250:251]
	v_mul_f64 v[250:251], v[150:151], s[24:25]
	v_add_f64 v[64:65], v[222:223], v[64:65]
	v_mul_f64 v[222:223], v[168:169], s[38:39]
	v_add_f64 v[66:67], v[22:23], v[66:67]
	v_add_f64 v[212:213], v[212:213], v[214:215]
	;; [unrolled: 1-line block ×3, first 2 shown]
	v_fma_f64 v[234:235], v[92:93], s[46:47], v[238:239]
	v_fma_f64 v[214:215], v[104:105], s[10:11], v[218:219]
	;; [unrolled: 1-line block ×3, first 2 shown]
	v_fma_f64 v[218:219], v[104:105], s[10:11], -v[218:219]
	v_add_f64 v[66:67], v[236:237], v[66:67]
	v_fma_f64 v[236:237], v[118:119], s[56:57], v[220:221]
	v_add_f64 v[70:71], v[70:71], v[212:213]
	v_add_f64 v[64:65], v[234:235], v[64:65]
	v_fma_f64 v[234:235], v[136:137], s[40:41], v[222:223]
	v_add_f64 v[214:215], v[214:215], v[230:231]
	v_mul_f64 v[230:231], v[182:183], s[50:51]
	v_mul_f64 v[212:213], v[206:207], s[42:43]
	v_fma_f64 v[220:221], v[118:119], s[38:39], v[220:221]
	v_fma_f64 v[222:223], v[136:137], s[40:41], -v[222:223]
	v_add_f64 v[246:247], v[246:247], v[66:67]
	v_add_f64 v[66:67], v[208:209], v[70:71]
	;; [unrolled: 1-line block ×5, first 2 shown]
	v_fma_f64 v[234:235], v[146:147], s[6:7], v[230:231]
	v_mul_f64 v[208:209], v[116:117], s[42:43]
	v_fma_f64 v[68:69], v[144:145], s[44:45], v[212:213]
	v_fma_f64 v[70:71], v[82:83], s[20:21], -v[224:225]
	v_add_f64 v[224:225], v[228:229], v[232:233]
	v_fma_f64 v[228:229], v[126:127], s[54:55], v[240:241]
	v_fma_f64 v[244:245], v[124:125], s[20:21], v[250:251]
	v_fma_f64 v[230:231], v[146:147], s[6:7], -v[230:231]
	v_fma_f64 v[240:241], v[126:127], s[24:25], v[240:241]
	v_fma_f64 v[212:213], v[144:145], s[30:31], v[212:213]
	v_add_f64 v[226:227], v[226:227], v[246:247]
	v_add_f64 v[232:233], v[248:249], v[236:237]
	v_fma_f64 v[236:237], v[162:163], s[42:43], v[210:211]
	v_fma_f64 v[210:211], v[162:163], s[42:43], -v[210:211]
	v_add_f64 v[214:215], v[234:235], v[214:215]
	v_mul_f64 v[234:235], v[90:91], s[44:45]
	v_fma_f64 v[246:247], v[76:77], s[30:31], v[208:209]
	v_fma_f64 v[208:209], v[76:77], s[44:45], v[208:209]
	v_add_f64 v[224:225], v[70:71], v[224:225]
	v_add_f64 v[228:229], v[22:23], v[228:229]
	;; [unrolled: 1-line block ×5, first 2 shown]
	v_mul_f64 v[238:239], v[96:97], s[8:9]
	v_add_f64 v[70:71], v[68:69], v[232:233]
	v_add_f64 v[68:69], v[236:237], v[214:215]
	v_mul_f64 v[214:215], v[138:139], s[10:11]
	v_fma_f64 v[232:233], v[72:73], s[42:43], v[234:235]
	v_add_f64 v[236:237], v[20:21], v[244:245]
	v_add_f64 v[218:219], v[218:219], v[224:225]
	v_mul_f64 v[224:225], v[128:129], s[26:27]
	v_add_f64 v[228:229], v[246:247], v[228:229]
	v_add_f64 v[246:247], v[252:253], v[58:59]
	v_mul_f64 v[252:253], v[168:169], s[4:5]
	;; [unrolled: 3-line block ×3, first 2 shown]
	v_add_f64 v[220:221], v[220:221], v[226:227]
	v_mul_f64 v[226:227], v[98:99], s[34:35]
	v_fma_f64 v[244:245], v[88:89], s[46:47], v[214:215]
	v_fma_f64 v[214:215], v[88:89], s[8:9], v[214:215]
	v_add_f64 v[232:233], v[232:233], v[236:237]
	v_fma_f64 v[236:237], v[86:87], s[10:11], v[238:239]
	v_add_f64 v[218:219], v[222:223], v[218:219]
	v_fma_f64 v[222:223], v[74:75], s[22:23], v[224:225]
	v_add_f64 v[54:55], v[246:247], v[54:55]
	v_fma_f64 v[224:225], v[74:75], s[34:35], v[224:225]
	v_fma_f64 v[238:239], v[86:87], s[10:11], -v[238:239]
	v_add_f64 v[48:49], v[52:53], v[48:49]
	v_fma_f64 v[52:53], v[76:77], s[34:35], v[240:241]
	v_fma_f64 v[240:241], v[76:77], s[22:23], v[240:241]
	v_add_f64 v[216:217], v[216:217], v[220:221]
	v_fma_f64 v[220:221], v[82:83], s[26:27], v[226:227]
	v_fma_f64 v[226:227], v[82:83], s[26:27], -v[226:227]
	v_add_f64 v[228:229], v[244:245], v[228:229]
	v_mul_f64 v[244:245], v[152:153], s[16:17]
	v_add_f64 v[208:209], v[214:215], v[208:209]
	v_add_f64 v[232:233], v[236:237], v[232:233]
	v_mul_f64 v[236:237], v[130:131], s[52:53]
	v_add_f64 v[218:219], v[230:231], v[218:219]
	v_mul_f64 v[230:231], v[184:185], s[6:7]
	v_add_f64 v[50:51], v[54:55], v[50:51]
	v_add_f64 v[44:45], v[48:49], v[44:45]
	v_mul_f64 v[48:49], v[96:97], s[50:51]
	v_add_f64 v[58:59], v[212:213], v[216:217]
	v_mul_f64 v[212:213], v[148:149], s[42:43]
	v_add_f64 v[222:223], v[222:223], v[228:229]
	v_fma_f64 v[228:229], v[92:93], s[18:19], v[244:245]
	v_add_f64 v[208:209], v[224:225], v[208:209]
	v_add_f64 v[220:221], v[220:221], v[232:233]
	v_fma_f64 v[254:255], v[104:105], s[16:17], v[236:237]
	v_add_f64 v[56:57], v[210:211], v[218:219]
	v_mul_f64 v[210:211], v[204:205], s[40:41]
	v_fma_f64 v[216:217], v[118:119], s[50:51], v[230:231]
	v_fma_f64 v[232:233], v[124:125], s[20:21], -v[250:251]
	v_mul_f64 v[224:225], v[206:207], s[28:29]
	v_fma_f64 v[244:245], v[92:93], s[52:53], v[244:245]
	v_add_f64 v[46:47], v[50:51], v[46:47]
	v_add_f64 v[44:45], v[44:45], v[40:41]
	v_mul_f64 v[250:251], v[148:149], s[16:17]
	v_fma_f64 v[236:237], v[104:105], s[16:17], -v[236:237]
	v_fma_f64 v[246:247], v[126:127], s[44:45], v[212:213]
	v_fma_f64 v[212:213], v[126:127], s[30:31], v[212:213]
	v_add_f64 v[218:219], v[228:229], v[222:223]
	v_fma_f64 v[228:229], v[136:137], s[6:7], v[252:253]
	v_mul_f64 v[222:223], v[182:183], s[38:39]
	v_add_f64 v[220:221], v[254:255], v[220:221]
	v_fma_f64 v[248:249], v[134:135], s[56:57], v[210:211]
	v_fma_f64 v[210:211], v[134:135], s[38:39], v[210:211]
	v_add_f64 v[232:233], v[20:21], v[232:233]
	v_add_f64 v[208:209], v[244:245], v[208:209]
	v_fma_f64 v[244:245], v[144:145], s[36:37], v[224:225]
	v_add_f64 v[46:47], v[46:47], v[42:43]
	v_add_f64 v[36:37], v[44:45], v[36:37]
	v_fma_f64 v[224:225], v[144:145], s[48:49], v[224:225]
	v_add_f64 v[54:55], v[22:23], v[246:247]
	v_mul_f64 v[246:247], v[90:91], s[22:23]
	v_add_f64 v[212:213], v[22:23], v[212:213]
	v_add_f64 v[216:217], v[216:217], v[218:219]
	v_mul_f64 v[218:219], v[150:151], s[30:31]
	v_fma_f64 v[214:215], v[146:147], s[40:41], v[222:223]
	v_add_f64 v[220:221], v[228:229], v[220:221]
	v_fma_f64 v[228:229], v[72:73], s[42:43], -v[234:235]
	v_mul_f64 v[234:235], v[138:139], s[6:7]
	v_fma_f64 v[222:223], v[146:147], s[40:41], -v[222:223]
	v_add_f64 v[38:39], v[46:47], v[38:39]
	v_mul_f64 v[46:47], v[90:91], s[38:39]
	v_add_f64 v[32:33], v[36:37], v[32:33]
	v_mul_f64 v[36:37], v[96:97], s[44:45]
	;; [unrolled: 2-line block ×3, first 2 shown]
	v_fma_f64 v[50:51], v[72:73], s[26:27], v[246:247]
	v_add_f64 v[212:213], v[240:241], v[212:213]
	v_mul_f64 v[240:241], v[98:99], s[36:37]
	v_mul_f64 v[90:91], v[90:91], s[24:25]
	;; [unrolled: 1-line block ×3, first 2 shown]
	v_add_f64 v[216:217], v[248:249], v[216:217]
	v_fma_f64 v[248:249], v[124:125], s[42:43], v[218:219]
	v_fma_f64 v[218:219], v[124:125], s[42:43], -v[218:219]
	v_add_f64 v[214:215], v[214:215], v[220:221]
	v_add_f64 v[228:229], v[228:229], v[232:233]
	v_mul_f64 v[232:233], v[200:201], s[48:49]
	v_fma_f64 v[220:221], v[88:89], s[4:5], v[234:235]
	v_fma_f64 v[234:235], v[88:89], s[50:51], v[234:235]
	v_add_f64 v[34:35], v[38:39], v[34:35]
	v_fma_f64 v[38:39], v[72:73], s[40:41], v[46:47]
	v_add_f64 v[28:29], v[32:33], v[28:29]
	v_mul_f64 v[32:33], v[72:73], s[16:17]
	v_fma_f64 v[46:47], v[72:73], s[40:41], -v[46:47]
	v_fma_f64 v[254:255], v[74:75], s[48:49], v[54:55]
	v_fma_f64 v[54:55], v[74:75], s[36:37], v[54:55]
	v_add_f64 v[42:43], v[244:245], v[216:217]
	v_add_f64 v[248:249], v[20:21], v[248:249]
	v_fma_f64 v[216:217], v[118:119], s[4:5], v[230:231]
	v_mul_f64 v[230:231], v[116:117], s[40:41]
	v_add_f64 v[228:229], v[238:239], v[228:229]
	v_fma_f64 v[238:239], v[162:163], s[28:29], v[232:233]
	v_add_f64 v[52:53], v[220:221], v[52:53]
	v_mul_f64 v[220:221], v[152:153], s[40:41]
	v_fma_f64 v[244:245], v[82:83], s[28:29], v[240:241]
	v_add_f64 v[212:213], v[234:235], v[212:213]
	v_fma_f64 v[234:235], v[72:73], s[26:27], -v[246:247]
	v_add_f64 v[218:219], v[20:21], v[218:219]
	v_mul_f64 v[246:247], v[124:125], s[10:11]
	v_fma_f64 v[240:241], v[82:83], s[28:29], -v[240:241]
	v_add_f64 v[30:31], v[34:35], v[30:31]
	v_mul_f64 v[34:35], v[116:117], s[16:17]
	v_add_f64 v[24:25], v[28:29], v[24:25]
	v_mul_f64 v[28:29], v[138:139], s[40:41]
	v_add_f64 v[32:33], v[32:33], -v[242:243]
	v_mul_f64 v[242:243], v[182:183], s[8:9]
	v_fma_f64 v[232:233], v[162:163], s[28:29], -v[232:233]
	v_add_f64 v[50:51], v[50:51], v[248:249]
	v_fma_f64 v[248:249], v[86:87], s[6:7], v[48:49]
	v_add_f64 v[44:45], v[216:217], v[208:209]
	v_add_f64 v[226:227], v[226:227], v[228:229]
	;; [unrolled: 1-line block ×3, first 2 shown]
	v_mul_f64 v[214:215], v[150:151], s[18:19]
	v_fma_f64 v[228:229], v[126:127], s[52:53], v[250:251]
	v_add_f64 v[52:53], v[254:255], v[52:53]
	v_fma_f64 v[238:239], v[92:93], s[56:57], v[220:221]
	v_fma_f64 v[216:217], v[76:77], s[56:57], v[230:231]
	v_mul_f64 v[150:151], v[150:151], s[36:37]
	v_add_f64 v[54:55], v[54:55], v[212:213]
	v_mul_f64 v[212:213], v[124:125], s[6:7]
	v_add_f64 v[218:219], v[234:235], v[218:219]
	v_fma_f64 v[48:49], v[86:87], s[6:7], -v[48:49]
	v_fma_f64 v[230:231], v[76:77], s[38:39], v[230:231]
	v_mul_f64 v[234:235], v[184:185], s[16:17]
	v_fma_f64 v[220:221], v[92:93], s[38:39], v[220:221]
	v_add_f64 v[156:157], v[246:247], -v[156:157]
	v_mul_f64 v[246:247], v[98:99], s[46:47]
	v_add_f64 v[34:35], v[94:95], v[34:35]
	v_add_f64 v[26:27], v[30:31], v[26:27]
	v_mul_f64 v[98:99], v[98:99], s[44:45]
	v_add_f64 v[50:51], v[248:249], v[50:51]
	v_fma_f64 v[248:249], v[126:127], s[18:19], v[250:251]
	v_add_f64 v[226:227], v[236:237], v[226:227]
	v_mul_f64 v[236:237], v[148:149], s[28:29]
	v_fma_f64 v[208:209], v[124:125], s[16:17], v[214:215]
	v_add_f64 v[228:229], v[22:23], v[228:229]
	v_fma_f64 v[214:215], v[124:125], s[16:17], -v[214:215]
	v_add_f64 v[52:53], v[238:239], v[52:53]
	v_mul_f64 v[238:239], v[138:139], s[42:43]
	v_fma_f64 v[250:251], v[136:137], s[6:7], -v[252:253]
	v_add_f64 v[44:45], v[210:211], v[44:45]
	v_add_f64 v[170:171], v[212:213], -v[170:171]
	v_mul_f64 v[210:211], v[184:185], s[26:27]
	v_add_f64 v[48:49], v[48:49], v[218:219]
	v_mul_f64 v[218:219], v[130:131], s[38:39]
	v_mul_f64 v[212:213], v[72:73], s[6:7]
	v_add_f64 v[54:55], v[220:221], v[54:55]
	v_mul_f64 v[220:221], v[152:153], s[28:29]
	v_add_f64 v[16:17], v[24:25], v[16:17]
	;; [unrolled: 2-line block ×3, first 2 shown]
	v_add_f64 v[50:51], v[244:245], v[50:51]
	v_mul_f64 v[244:245], v[148:149], s[6:7]
	v_mul_f64 v[148:149], v[148:149], s[10:11]
	v_add_f64 v[248:249], v[22:23], v[248:249]
	v_add_f64 v[208:209], v[20:21], v[208:209]
	;; [unrolled: 1-line block ×3, first 2 shown]
	v_fma_f64 v[228:229], v[126:127], s[48:49], v[236:237]
	v_fma_f64 v[126:127], v[126:127], s[36:37], v[236:237]
	;; [unrolled: 1-line block ×3, first 2 shown]
	v_fma_f64 v[124:125], v[124:125], s[28:29], -v[150:151]
	v_fma_f64 v[150:151], v[88:89], s[30:31], v[238:239]
	v_fma_f64 v[238:239], v[88:89], s[44:45], v[238:239]
	v_add_f64 v[214:215], v[20:21], v[214:215]
	v_add_f64 v[170:171], v[20:21], v[170:171]
	;; [unrolled: 1-line block ×3, first 2 shown]
	v_fma_f64 v[240:241], v[104:105], s[40:41], v[218:219]
	v_add_f64 v[226:227], v[250:251], v[226:227]
	v_fma_f64 v[218:219], v[104:105], s[40:41], -v[218:219]
	v_mul_f64 v[250:251], v[86:87], s[28:29]
	v_add_f64 v[78:79], v[212:213], -v[78:79]
	v_add_f64 v[14:15], v[18:19], v[14:15]
	v_add_f64 v[12:13], v[16:17], v[12:13]
	;; [unrolled: 1-line block ×4, first 2 shown]
	v_mul_f64 v[244:245], v[128:129], s[10:11]
	v_add_f64 v[148:149], v[164:165], v[148:149]
	v_add_f64 v[38:39], v[38:39], v[208:209]
	v_fma_f64 v[208:209], v[86:87], s[42:43], v[36:37]
	v_add_f64 v[230:231], v[230:231], v[248:249]
	v_fma_f64 v[248:249], v[118:119], s[18:19], v[234:235]
	v_add_f64 v[228:229], v[22:23], v[228:229]
	v_add_f64 v[236:237], v[20:21], v[236:237]
	;; [unrolled: 1-line block ×6, first 2 shown]
	v_fma_f64 v[156:157], v[82:83], s[10:11], v[246:247]
	v_fma_f64 v[234:235], v[118:119], s[52:53], v[234:235]
	v_add_f64 v[50:51], v[240:241], v[50:51]
	v_add_f64 v[222:223], v[222:223], v[226:227]
	v_mul_f64 v[226:227], v[128:129], s[16:17]
	v_mul_f64 v[164:165], v[116:117], s[6:7]
	;; [unrolled: 1-line block ×3, first 2 shown]
	v_add_f64 v[48:49], v[218:219], v[48:49]
	v_mul_f64 v[218:219], v[86:87], s[20:21]
	v_add_f64 v[172:173], v[22:23], v[172:173]
	v_fma_f64 v[216:217], v[74:75], s[8:9], v[244:245]
	v_add_f64 v[22:23], v[22:23], v[148:149]
	v_mul_f64 v[148:149], v[130:131], s[36:37]
	v_add_f64 v[38:39], v[208:209], v[38:39]
	v_fma_f64 v[244:245], v[74:75], s[46:47], v[244:245]
	v_add_f64 v[230:231], v[238:239], v[230:231]
	v_mul_f64 v[238:239], v[168:169], s[52:53]
	v_mul_f64 v[208:209], v[204:205], s[10:11]
	v_add_f64 v[52:53], v[248:249], v[52:53]
	v_add_f64 v[106:107], v[250:251], -v[106:107]
	v_add_f64 v[32:33], v[32:33], v[170:171]
	v_add_f64 v[20:21], v[78:79], v[20:21]
	v_fma_f64 v[36:37], v[86:87], s[42:43], -v[36:37]
	v_add_f64 v[54:55], v[234:235], v[54:55]
	v_add_f64 v[46:47], v[46:47], v[214:215]
	v_mul_f64 v[130:131], v[130:131], s[50:51]
	v_add_f64 v[132:133], v[132:133], v[226:227]
	v_add_f64 v[84:85], v[84:85], v[164:165]
	v_fma_f64 v[30:31], v[76:77], s[24:25], v[116:117]
	v_fma_f64 v[76:77], v[76:77], s[54:55], v[116:117]
	v_add_f64 v[114:115], v[218:219], -v[114:115]
	v_add_f64 v[34:35], v[34:35], v[172:173]
	v_add_f64 v[150:151], v[216:217], v[150:151]
	v_fma_f64 v[216:217], v[92:93], s[48:49], v[220:221]
	v_fma_f64 v[248:249], v[104:105], s[28:29], v[148:149]
	v_add_f64 v[38:39], v[156:157], v[38:39]
	v_mul_f64 v[156:157], v[168:169], s[34:35]
	v_add_f64 v[230:231], v[244:245], v[230:231]
	v_mul_f64 v[244:245], v[138:139], s[28:29]
	v_fma_f64 v[234:235], v[136:137], s[16:17], v[238:239]
	v_mul_f64 v[138:139], v[138:139], s[20:21]
	v_fma_f64 v[220:221], v[92:93], s[36:37], v[220:221]
	v_fma_f64 v[240:241], v[134:135], s[46:47], v[208:209]
	;; [unrolled: 1-line block ×3, first 2 shown]
	v_fma_f64 v[238:239], v[136:137], s[16:17], -v[238:239]
	v_mul_f64 v[116:117], v[104:105], s[42:43]
	v_add_f64 v[20:21], v[106:107], v[20:21]
	v_fma_f64 v[246:247], v[82:83], s[10:11], -v[246:247]
	v_add_f64 v[36:37], v[36:37], v[46:47]
	v_add_f64 v[22:23], v[84:85], v[22:23]
	;; [unrolled: 1-line block ×4, first 2 shown]
	v_mul_f64 v[126:127], v[104:105], s[26:27]
	v_add_f64 v[32:33], v[114:115], v[32:33]
	v_mul_f64 v[214:215], v[136:137], s[42:43]
	v_add_f64 v[150:151], v[216:217], v[150:151]
	v_fma_f64 v[216:217], v[118:119], s[22:23], v[210:211]
	v_add_f64 v[38:39], v[248:249], v[38:39]
	v_fma_f64 v[248:249], v[136:137], s[26:27], v[156:157]
	v_fma_f64 v[210:211], v[118:119], s[34:35], v[210:211]
	v_add_f64 v[112:113], v[112:113], v[244:245]
	v_add_f64 v[50:51], v[234:235], v[50:51]
	v_mul_f64 v[234:235], v[128:129], s[40:41]
	v_add_f64 v[120:121], v[120:121], v[138:139]
	v_add_f64 v[220:221], v[220:221], v[230:231]
	;; [unrolled: 1-line block ×3, first 2 shown]
	v_mul_f64 v[240:241], v[82:83], s[40:41]
	v_mul_f64 v[128:129], v[128:129], s[42:43]
	v_add_f64 v[54:55], v[208:209], v[54:55]
	v_fma_f64 v[208:209], v[72:73], s[20:21], v[90:91]
	v_fma_f64 v[72:73], v[72:73], s[20:21], -v[90:91]
	v_mul_f64 v[230:231], v[82:83], s[16:17]
	v_add_f64 v[48:49], v[238:239], v[48:49]
	v_mul_f64 v[238:239], v[152:153], s[42:43]
	v_mul_f64 v[90:91], v[184:185], s[20:21]
	v_add_f64 v[116:117], v[116:117], -v[154:155]
	v_add_f64 v[126:127], v[126:127], -v[160:161]
	v_fma_f64 v[114:115], v[104:105], s[6:7], -v[130:131]
	v_add_f64 v[150:151], v[216:217], v[150:151]
	v_fma_f64 v[216:217], v[88:89], s[56:57], v[28:29]
	v_add_f64 v[38:39], v[248:249], v[38:39]
	v_mul_f64 v[248:249], v[152:153], s[26:27]
	v_fma_f64 v[28:29], v[88:89], s[38:39], v[28:29]
	v_mul_f64 v[152:153], v[152:153], s[6:7]
	v_add_f64 v[142:143], v[142:143], v[234:235]
	v_add_f64 v[34:35], v[120:121], v[34:35]
	;; [unrolled: 1-line block ×3, first 2 shown]
	v_mul_f64 v[220:221], v[136:137], s[20:21]
	v_add_f64 v[140:141], v[240:241], -v[140:141]
	v_fma_f64 v[240:241], v[74:75], s[44:45], v[128:129]
	v_fma_f64 v[74:75], v[74:75], s[30:31], v[128:129]
	v_add_f64 v[208:209], v[208:209], v[236:237]
	v_add_f64 v[72:73], v[72:73], v[124:125]
	;; [unrolled: 1-line block ×3, first 2 shown]
	v_add_f64 v[122:123], v[230:231], -v[122:123]
	v_fma_f64 v[230:231], v[82:83], s[42:43], -v[98:99]
	v_fma_f64 v[81:82], v[82:83], s[42:43], v[98:99]
	v_fma_f64 v[46:47], v[104:105], s[28:29], -v[148:149]
	v_fma_f64 v[104:105], v[104:105], s[6:7], v[130:131]
	v_mul_f64 v[88:89], v[146:147], s[26:27]
	v_mul_f64 v[228:229], v[204:205], s[26:27]
	v_add_f64 v[30:31], v[216:217], v[30:31]
	v_fma_f64 v[216:217], v[86:87], s[40:41], v[96:97]
	v_add_f64 v[128:129], v[166:167], v[248:249]
	v_fma_f64 v[86:87], v[86:87], s[40:41], -v[96:97]
	v_add_f64 v[28:29], v[28:29], v[76:77]
	v_fma_f64 v[106:107], v[92:93], s[50:51], v[152:153]
	v_add_f64 v[34:35], v[142:143], v[34:35]
	v_add_f64 v[142:143], v[158:159], v[238:239]
	v_mul_f64 v[76:77], v[168:169], s[8:9]
	v_add_f64 v[24:25], v[140:141], v[32:33]
	v_add_f64 v[32:33], v[246:247], v[36:37]
	v_fma_f64 v[92:93], v[92:93], s[4:5], v[152:153]
	v_mul_f64 v[96:97], v[204:205], s[28:29]
	v_mul_f64 v[172:173], v[204:205], s[20:21]
	v_add_f64 v[22:23], v[132:133], v[22:23]
	v_add_f64 v[20:21], v[122:123], v[20:21]
	;; [unrolled: 1-line block ×3, first 2 shown]
	v_mul_f64 v[236:237], v[146:147], s[28:29]
	v_mul_f64 v[84:85], v[182:183], s[54:55]
	v_add_f64 v[122:123], v[214:215], -v[178:179]
	v_fma_f64 v[36:37], v[136:137], s[26:27], -v[156:157]
	v_add_f64 v[10:11], v[14:15], v[10:11]
	v_add_f64 v[30:31], v[240:241], v[30:31]
	;; [unrolled: 1-line block ×5, first 2 shown]
	v_mul_f64 v[86:87], v[184:185], s[10:11]
	v_add_f64 v[28:29], v[74:75], v[28:29]
	v_add_f64 v[34:35], v[128:129], v[34:35]
	v_add_f64 v[128:129], v[220:221], -v[174:175]
	buffer_load_dword v220, off, s[60:63], 0 offset:8 ; 4-byte Folded Reload
	v_add_f64 v[18:19], v[126:127], v[24:25]
	v_mul_f64 v[74:75], v[182:183], s[18:19]
	v_add_f64 v[24:25], v[46:47], v[32:33]
	v_mul_f64 v[124:125], v[162:163], s[40:41]
	v_mul_f64 v[138:139], v[206:207], s[40:41]
	v_add_f64 v[22:23], v[142:143], v[22:23]
	v_add_f64 v[16:17], v[116:117], v[20:21]
	v_mul_f64 v[234:235], v[206:207], s[6:7]
	v_fma_f64 v[120:121], v[134:135], s[24:25], v[172:173]
	v_fma_f64 v[172:173], v[134:135], s[54:55], v[172:173]
	v_add_f64 v[96:97], v[198:199], v[96:97]
	v_mul_f64 v[218:219], v[162:163], s[10:11]
	v_mul_f64 v[244:245], v[206:207], s[10:11]
	v_add_f64 v[30:31], v[106:107], v[30:31]
	v_add_f64 v[81:82], v[81:82], v[98:99]
	v_fma_f64 v[106:107], v[136:137], s[10:11], -v[76:77]
	v_add_f64 v[26:27], v[230:231], v[72:73]
	v_fma_f64 v[98:99], v[118:119], s[8:9], v[86:87]
	v_mul_f64 v[72:73], v[204:205], s[16:17]
	v_fma_f64 v[46:47], v[118:119], s[46:47], v[86:87]
	v_add_f64 v[28:29], v[92:93], v[28:29]
	v_fma_f64 v[76:77], v[136:137], s[10:11], v[76:77]
	v_add_f64 v[34:35], v[94:95], v[34:35]
	v_add_f64 v[87:88], v[88:89], -v[186:187]
	v_fma_f64 v[112:113], v[146:147], s[20:21], v[84:85]
	v_add_f64 v[94:95], v[236:237], -v[194:195]
	v_add_f64 v[14:15], v[122:123], v[18:19]
	v_add_f64 v[22:23], v[90:91], v[22:23]
	;; [unrolled: 1-line block ×3, first 2 shown]
	v_mul_f64 v[32:33], v[206:207], s[26:27]
	v_fma_f64 v[92:93], v[146:147], s[16:17], -v[74:75]
	v_mul_f64 v[226:227], v[200:201], s[50:51]
	v_add_f64 v[18:19], v[36:37], v[24:25]
	v_mul_f64 v[164:165], v[206:207], s[20:21]
	v_mul_f64 v[212:213], v[200:201], s[24:25]
	v_fma_f64 v[170:171], v[146:147], s[10:11], v[242:243]
	v_add_f64 v[81:82], v[104:105], v[81:82]
	v_fma_f64 v[242:243], v[146:147], s[10:11], -v[242:243]
	v_add_f64 v[20:21], v[114:115], v[26:27]
	v_add_f64 v[30:31], v[98:99], v[30:31]
	;; [unrolled: 1-line block ×3, first 2 shown]
	v_fma_f64 v[26:27], v[146:147], s[20:21], -v[84:85]
	v_fma_f64 v[85:86], v[134:135], s[18:19], v[72:73]
	v_mul_f64 v[83:84], v[200:201], s[34:35]
	v_fma_f64 v[72:73], v[134:135], s[52:53], v[72:73]
	v_add_f64 v[28:29], v[46:47], v[28:29]
	v_fma_f64 v[46:47], v[146:147], s[16:17], v[74:75]
	v_add_f64 v[6:7], v[10:11], v[6:7]
	v_add_f64 v[10:11], v[8:9], v[4:5]
	;; [unrolled: 1-line block ×6, first 2 shown]
	v_add_f64 v[89:90], v[218:219], -v[196:197]
	v_add_f64 v[14:15], v[94:95], v[14:15]
	v_fma_f64 v[36:37], v[162:163], s[6:7], -v[226:227]
	v_fma_f64 v[250:251], v[144:145], s[54:55], v[164:165]
	v_fma_f64 v[78:79], v[162:163], s[20:21], v[212:213]
	v_add_f64 v[74:75], v[76:77], v[81:82]
	v_fma_f64 v[76:77], v[144:145], s[34:35], v[32:33]
	v_add_f64 v[16:17], v[106:107], v[20:21]
	;; [unrolled: 2-line block ×3, first 2 shown]
	v_add_f64 v[98:99], v[124:125], -v[188:189]
	v_add_f64 v[30:31], v[85:86], v[30:31]
	v_add_f64 v[85:86], v[202:203], v[244:245]
	v_fma_f64 v[81:82], v[162:163], s[26:27], -v[83:84]
	v_fma_f64 v[164:165], v[144:145], s[24:25], v[164:165]
	v_fma_f64 v[212:213], v[162:163], s[20:21], -v[212:213]
	v_add_f64 v[48:49], v[242:243], v[48:49]
	v_add_f64 v[50:51], v[170:171], v[50:51]
	v_fma_f64 v[104:105], v[144:145], s[4:5], v[234:235]
	v_add_f64 v[106:107], v[120:121], v[150:151]
	v_fma_f64 v[114:115], v[162:163], s[6:7], v[226:227]
	;; [unrolled: 2-line block ×4, first 2 shown]
	v_add_f64 v[28:29], v[6:7], v[2:3]
	v_add_f64 v[4:5], v[224:225], v[44:45]
	;; [unrolled: 1-line block ×17, first 2 shown]
	v_mov_b32_e32 v1, 4
	v_add_f64 v[34:35], v[114:115], v[38:39]
	v_add_f64 v[46:47], v[112:113], v[72:73]
	;; [unrolled: 1-line block ×6, first 2 shown]
	s_waitcnt vmcnt(0)
	v_mul_lo_u16 v0, v220, 17
	v_lshlrev_b32_sdwa v0, v1, v0 dst_sel:DWORD dst_unused:UNUSED_PAD src0_sel:DWORD src1_sel:WORD_0
	ds_write_b128 v0, v[26:29]
	ds_write_b128 v0, v[22:25] offset:16
	ds_write_b128 v0, v[18:21] offset:32
	;; [unrolled: 1-line block ×16, first 2 shown]
.LBB0_7:
	s_or_b32 exec_lo, exec_lo, s33
	v_and_b32_e32 v1, 0xff, v220
	v_add_co_u32 v2, null, 0xee, v220
	v_mov_b32_e32 v3, 0xf0f1
	v_add_co_u32 v5, null, 0x165, v220
	v_mul_lo_u16 v0, 0xf1, v1
	s_load_dwordx4 s[4:7], s[0:1], 0x0
	s_waitcnt lgkmcnt(0)
	s_waitcnt_vscnt null, 0x0
	s_barrier
	buffer_gl0_inv
	v_lshrrev_b16 v81, 12, v0
	v_mul_u32_u24_sdwa v0, v2, v3 dst_sel:DWORD dst_unused:UNUSED_PAD src0_sel:WORD_0 src1_sel:DWORD
	v_add_co_u32 v7, null, 0x1dc, v220
	v_add_nc_u16 v99, v220, 0x77
	v_mul_lo_u16 v4, v81, 17
	v_lshrrev_b32_e32 v87, 20, v0
	v_mul_lo_u16 v1, 0xa1, v1
	s_mov_b32 s0, 0xe8584caa
	v_and_b32_e32 v116, 0xff, v99
	v_sub_nc_u16 v0, v220, v4
	v_mul_u32_u24_sdwa v4, v5, v3 dst_sel:DWORD dst_unused:UNUSED_PAD src0_sel:WORD_0 src1_sel:DWORD
	v_mul_lo_u16 v6, v87, 17
	v_mul_u32_u24_sdwa v3, v7, v3 dst_sel:DWORD dst_unused:UNUSED_PAD src0_sel:WORD_0 src1_sel:DWORD
	v_lshrrev_b16 v1, 13, v1
	v_and_b32_e32 v88, 0xff, v0
	v_lshrrev_b32_e32 v91, 20, v4
	v_sub_nc_u16 v92, v2, v6
	v_mov_b32_e32 v0, 4
	v_lshrrev_b32_e32 v93, 20, v3
	v_lshlrev_b32_e32 v4, 5, v88
	v_mul_lo_u16 v6, v91, 17
	v_lshlrev_b16 v8, 1, v92
	v_lshlrev_b32_sdwa v82, v0, v220 dst_sel:DWORD dst_unused:UNUSED_PAD src0_sel:DWORD src1_sel:WORD_0
	s_mov_b32 s1, 0x3febb67a
	s_clause 0x1
	global_load_dwordx4 v[126:129], v4, s[2:3]
	global_load_dwordx4 v[122:125], v4, s[2:3] offset:16
	v_sub_nc_u16 v94, v5, v6
	v_lshlrev_b32_sdwa v3, v0, v8 dst_sel:DWORD dst_unused:UNUSED_PAD src0_sel:DWORD src1_sel:WORD_0
	v_mul_lo_u16 v5, 0xf1, v116
	v_mul_lo_u16 v4, v93, 17
	s_mov_b32 s9, 0xbfebb67a
	v_lshlrev_b16 v6, 1, v94
	s_clause 0x1
	global_load_dwordx4 v[118:121], v3, s[2:3]
	global_load_dwordx4 v[59:62], v3, s[2:3] offset:16
	v_lshrrev_b16 v96, 12, v5
	v_sub_nc_u16 v95, v7, v4
	v_lshlrev_b32_sdwa v3, v0, v6 dst_sel:DWORD dst_unused:UNUSED_PAD src0_sel:DWORD src1_sel:WORD_0
	s_mov_b32 s8, s0
	s_mov_b32 s16, 0x134454ff
	v_mul_lo_u16 v5, v96, 17
	v_lshlrev_b16 v4, 1, v95
	s_clause 0x1
	global_load_dwordx4 v[112:115], v3, s[2:3]
	global_load_dwordx4 v[55:58], v3, s[2:3] offset:16
	s_mov_b32 s17, 0x3fee6f0e
	v_sub_nc_u16 v3, v99, v5
	v_lshlrev_b32_sdwa v4, v0, v4 dst_sel:DWORD dst_unused:UNUSED_PAD src0_sel:DWORD src1_sel:WORD_0
	s_mov_b32 s11, 0xbfee6f0e
	s_mov_b32 s10, s16
	;; [unrolled: 1-line block ×3, first 2 shown]
	v_and_b32_e32 v117, 0xff, v3
	s_clause 0x1
	global_load_dwordx4 v[51:54], v4, s[2:3]
	global_load_dwordx4 v[104:107], v4, s[2:3] offset:16
	s_mov_b32 s19, 0x3fd3c6ef
                                        ; implicit-def: $vgpr172_vgpr173
                                        ; implicit-def: $vgpr176_vgpr177
                                        ; implicit-def: $vgpr180_vgpr181
	v_lshlrev_b32_e32 v3, 5, v117
	s_clause 0x1
	global_load_dwordx4 v[130:133], v3, s[2:3]
	global_load_dwordx4 v[134:137], v3, s[2:3] offset:16
	ds_read_b128 v[3:6], v82 offset:9520
	ds_read_b128 v[7:10], v82 offset:19040
	;; [unrolled: 1-line block ×11, first 2 shown]
	s_waitcnt vmcnt(9) lgkmcnt(10)
	v_mul_f64 v[27:28], v[5:6], v[128:129]
	s_waitcnt vmcnt(8) lgkmcnt(9)
	v_mul_f64 v[31:32], v[9:10], v[124:125]
	v_mul_f64 v[29:30], v[3:4], v[128:129]
	v_mul_f64 v[33:34], v[7:8], v[124:125]
	s_waitcnt vmcnt(7) lgkmcnt(8)
	v_mul_f64 v[35:36], v[13:14], v[120:121]
	s_waitcnt vmcnt(6) lgkmcnt(7)
	v_mul_f64 v[39:40], v[17:18], v[61:62]
	v_mul_f64 v[37:38], v[11:12], v[120:121]
	;; [unrolled: 1-line block ×3, first 2 shown]
	s_waitcnt vmcnt(5) lgkmcnt(4)
	v_mul_f64 v[43:44], v[66:67], v[114:115]
	s_waitcnt vmcnt(4)
	v_mul_f64 v[47:48], v[21:22], v[57:58]
	v_mul_f64 v[45:46], v[64:65], v[114:115]
	v_fma_f64 v[27:28], v[3:4], v[126:127], -v[27:28]
	buffer_store_dword v126, off, s[60:63], 0 offset:284 ; 4-byte Folded Spill
	buffer_store_dword v127, off, s[60:63], 0 offset:288 ; 4-byte Folded Spill
	;; [unrolled: 1-line block ×4, first 2 shown]
	v_fma_f64 v[31:32], v[7:8], v[122:123], -v[31:32]
	buffer_store_dword v122, off, s[60:63], 0 offset:268 ; 4-byte Folded Spill
	buffer_store_dword v123, off, s[60:63], 0 offset:272 ; 4-byte Folded Spill
	;; [unrolled: 1-line block ×4, first 2 shown]
	v_mul_f64 v[3:4], v[19:20], v[57:58]
	s_waitcnt vmcnt(3) lgkmcnt(3)
	v_mul_f64 v[7:8], v[68:69], v[53:54]
	v_fma_f64 v[35:36], v[11:12], v[118:119], -v[35:36]
	buffer_store_dword v118, off, s[60:63], 0 offset:252 ; 4-byte Folded Spill
	buffer_store_dword v119, off, s[60:63], 0 offset:256 ; 4-byte Folded Spill
	buffer_store_dword v120, off, s[60:63], 0 offset:260 ; 4-byte Folded Spill
	buffer_store_dword v121, off, s[60:63], 0 offset:264 ; 4-byte Folded Spill
	v_fma_f64 v[39:40], v[15:16], v[59:60], -v[39:40]
	buffer_store_dword v59, off, s[60:63], 0 offset:220 ; 4-byte Folded Spill
	buffer_store_dword v60, off, s[60:63], 0 offset:224 ; 4-byte Folded Spill
	;; [unrolled: 1-line block ×4, first 2 shown]
	s_waitcnt vmcnt(2) lgkmcnt(1)
	v_mul_f64 v[11:12], v[76:77], v[106:107]
	s_waitcnt vmcnt(0)
	v_mul_f64 v[49:50], v[72:73], v[136:137]
	v_fma_f64 v[43:44], v[64:65], v[112:113], -v[43:44]
	buffer_store_dword v112, off, s[60:63], 0 offset:236 ; 4-byte Folded Spill
	buffer_store_dword v113, off, s[60:63], 0 offset:240 ; 4-byte Folded Spill
	;; [unrolled: 1-line block ×4, first 2 shown]
	v_fma_f64 v[19:20], v[19:20], v[55:56], -v[47:48]
	buffer_store_dword v55, off, s[60:63], 0 offset:204 ; 4-byte Folded Spill
	buffer_store_dword v56, off, s[60:63], 0 offset:208 ; 4-byte Folded Spill
	;; [unrolled: 1-line block ×4, first 2 shown]
	v_fma_f64 v[29:30], v[5:6], v[126:127], v[29:30]
	v_mul_f64 v[5:6], v[70:71], v[53:54]
	v_fma_f64 v[33:34], v[9:10], v[122:123], v[33:34]
	v_mul_f64 v[9:10], v[78:79], v[106:107]
	v_fma_f64 v[37:38], v[13:14], v[118:119], v[37:38]
	s_waitcnt lgkmcnt(0)
	v_mul_f64 v[13:14], v[85:86], v[132:133]
	v_fma_f64 v[15:16], v[17:18], v[59:60], v[41:42]
	v_mul_f64 v[41:42], v[74:75], v[136:137]
	v_mul_f64 v[17:18], v[83:84], v[132:133]
	v_add_f64 v[59:60], v[35:36], v[39:40]
	v_mad_u16 v118, v91, 51, v94
	v_mad_u16 v119, v93, 51, v95
	v_fma_f64 v[45:46], v[66:67], v[112:113], v[45:46]
	v_fma_f64 v[21:22], v[21:22], v[55:56], v[3:4]
	v_fma_f64 v[47:48], v[68:69], v[51:52], -v[5:6]
	buffer_store_dword v51, off, s[60:63], 0 offset:188 ; 4-byte Folded Spill
	buffer_store_dword v52, off, s[60:63], 0 offset:192 ; 4-byte Folded Spill
	;; [unrolled: 1-line block ×4, first 2 shown]
	ds_read_b128 v[3:6], v82
	v_fma_f64 v[57:58], v[76:77], v[104:105], -v[9:10]
	buffer_store_dword v104, off, s[60:63], 0 offset:172 ; 4-byte Folded Spill
	buffer_store_dword v105, off, s[60:63], 0 offset:176 ; 4-byte Folded Spill
	;; [unrolled: 1-line block ×4, first 2 shown]
	v_add_f64 v[53:54], v[27:28], v[31:32]
	v_add_f64 v[55:56], v[29:30], v[33:34]
	v_fma_f64 v[63:64], v[83:84], v[130:131], -v[13:14]
	v_fma_f64 v[41:42], v[72:73], v[134:135], -v[41:42]
	s_waitcnt lgkmcnt(0)
	v_add_f64 v[67:68], v[3:4], v[27:28]
	v_add_f64 v[27:28], v[27:28], -v[31:32]
	v_fma_f64 v[53:54], v[53:54], -0.5, v[3:4]
	v_fma_f64 v[55:56], v[55:56], -0.5, v[5:6]
	v_fma_f64 v[51:52], v[70:71], v[51:52], v[7:8]
	ds_read_b128 v[7:10], v82 offset:3808
	buffer_store_dword v130, off, s[60:63], 0 offset:300 ; 4-byte Folded Spill
	buffer_store_dword v131, off, s[60:63], 0 offset:304 ; 4-byte Folded Spill
	;; [unrolled: 1-line block ×4, first 2 shown]
	v_fma_f64 v[61:62], v[78:79], v[104:105], v[11:12]
	ds_read_b128 v[11:14], v82 offset:1904
	buffer_store_dword v134, off, s[60:63], 0 offset:316 ; 4-byte Folded Spill
	buffer_store_dword v135, off, s[60:63], 0 offset:320 ; 4-byte Folded Spill
	;; [unrolled: 1-line block ×4, first 2 shown]
	v_add_f64 v[69:70], v[37:38], v[15:16]
	s_waitcnt lgkmcnt(1)
	v_fma_f64 v[59:60], v[59:60], -0.5, v[7:8]
	v_add_f64 v[71:72], v[7:8], v[35:36]
	v_add_f64 v[7:8], v[67:68], v[31:32]
	v_add_f64 v[31:32], v[37:38], -v[15:16]
	v_add_f64 v[67:68], v[51:52], v[61:62]
	v_add_f64 v[35:36], v[35:36], -v[39:40]
	v_fma_f64 v[78:79], v[69:70], -0.5, v[9:10]
	v_add_f64 v[69:70], v[9:10], v[37:38]
	v_add_f64 v[37:38], v[45:46], v[21:22]
	v_fma_f64 v[76:77], v[31:32], s[8:9], v[59:60]
	v_fma_f64 v[114:115], v[67:68], -0.5, v[25:26]
	v_add_f64 v[67:68], v[63:64], v[41:42]
	v_add_f64 v[25:26], v[25:26], v[51:52]
	v_add_f64 v[51:52], v[51:52], -v[61:62]
	v_fma_f64 v[65:66], v[85:86], v[130:131], v[17:18]
	v_add_f64 v[17:18], v[5:6], v[29:30]
	ds_read_b128 v[3:6], v82 offset:5712
	v_fma_f64 v[49:50], v[74:75], v[134:135], v[49:50]
	v_add_f64 v[29:30], v[29:30], -v[33:34]
	s_waitcnt lgkmcnt(1)
	v_fma_f64 v[85:86], v[67:68], -0.5, v[11:12]
	v_fma_f64 v[74:75], v[35:36], s[8:9], v[78:79]
	v_fma_f64 v[78:79], v[35:36], s[0:1], v[78:79]
	s_waitcnt lgkmcnt(0)
	s_waitcnt_vscnt null, 0x0
	s_barrier
	buffer_gl0_inv
	v_add_f64 v[9:10], v[17:18], v[33:34]
	v_add_f64 v[33:34], v[43:44], v[19:20]
	;; [unrolled: 1-line block ×5, first 2 shown]
	v_fma_f64 v[5:6], v[37:38], -0.5, v[5:6]
	v_add_f64 v[37:38], v[47:48], v[57:58]
	v_add_f64 v[67:68], v[65:66], v[49:50]
	;; [unrolled: 1-line block ×3, first 2 shown]
	v_add_f64 v[45:46], v[45:46], -v[21:22]
	v_fma_f64 v[72:73], v[31:32], s[0:1], v[59:60]
	v_fma_f64 v[33:34], v[33:34], -0.5, v[3:4]
	v_add_f64 v[3:4], v[3:4], v[43:44]
	v_add_f64 v[43:44], v[43:44], -v[19:20]
	v_fma_f64 v[37:38], v[37:38], -0.5, v[23:24]
	v_add_f64 v[23:24], v[23:24], v[47:48]
	v_fma_f64 v[89:90], v[67:68], -0.5, v[13:14]
	v_add_f64 v[67:68], v[13:14], v[65:66]
	v_add_f64 v[13:14], v[39:40], v[21:22]
	v_mad_u16 v21, v87, 51, v92
	v_add_f64 v[39:40], v[65:66], -v[49:50]
	v_add_f64 v[91:92], v[63:64], -v[41:42]
	v_add_f64 v[47:48], v[47:48], -v[57:58]
	v_fma_f64 v[64:65], v[29:30], s[0:1], v[53:54]
	v_lshlrev_b32_sdwa v63, v0, v21 dst_sel:DWORD dst_unused:UNUSED_PAD src0_sel:DWORD src1_sel:WORD_0
	v_add_f64 v[21:22], v[25:26], v[61:62]
	v_add_f64 v[11:12], v[3:4], v[19:20]
	v_mov_b32_e32 v3, 51
	v_fma_f64 v[97:98], v[43:44], s[0:1], v[5:6]
	v_fma_f64 v[93:94], v[43:44], s[8:9], v[5:6]
	;; [unrolled: 1-line block ×3, first 2 shown]
	v_add_f64 v[19:20], v[23:24], v[57:58]
	v_mul_u32_u24_sdwa v4, v81, v3 dst_sel:DWORD dst_unused:UNUSED_PAD src0_sel:WORD_0 src1_sel:DWORD
	v_mul_u32_u24_sdwa v81, v96, v3 dst_sel:DWORD dst_unused:UNUSED_PAD src0_sel:WORD_0 src1_sel:DWORD
	v_add_f64 v[25:26], v[67:68], v[49:50]
	v_add_f64 v[23:24], v[69:70], v[41:42]
	v_fma_f64 v[68:69], v[29:30], s[8:9], v[53:54]
	v_add_lshl_u32 v120, v4, v88, 4
	v_fma_f64 v[70:71], v[27:28], s[0:1], v[55:56]
	v_fma_f64 v[83:84], v[39:40], s[0:1], v[85:86]
	;; [unrolled: 1-line block ×9, first 2 shown]
	v_mul_lo_u16 v3, v1, 51
	v_fma_f64 v[91:92], v[45:46], s[0:1], v[33:34]
	v_fma_f64 v[104:105], v[51:52], s[0:1], v[37:38]
	v_lshlrev_b32_sdwa v6, v0, v118 dst_sel:DWORD dst_unused:UNUSED_PAD src0_sel:DWORD src1_sel:WORD_0
	v_lshlrev_b32_sdwa v5, v0, v119 dst_sel:DWORD dst_unused:UNUSED_PAD src0_sel:DWORD src1_sel:WORD_0
	v_sub_nc_u16 v3, v220, v3
	v_add_lshl_u32 v27, v81, v117, 4
	ds_write_b128 v120, v[7:10]
	ds_write_b128 v120, v[64:67] offset:272
	v_and_b32_e32 v3, 0xff, v3
	buffer_store_dword v120, off, s[60:63], 0 offset:344 ; 4-byte Folded Spill
	ds_write_b128 v120, v[68:71] offset:544
	ds_write_b128 v27, v[23:26]
	ds_write_b128 v27, v[83:86] offset:272
	buffer_store_dword v27, off, s[60:63], 0 offset:348 ; 4-byte Folded Spill
	ds_write_b128 v27, v[87:90] offset:544
	ds_write_b128 v63, v[15:18]
	ds_write_b128 v63, v[72:75] offset:272
	v_lshlrev_b32_e32 v4, 6, v3
	buffer_store_dword v63, off, s[60:63], 0 offset:336 ; 4-byte Folded Spill
	ds_write_b128 v63, v[76:79] offset:544
	ds_write_b128 v6, v[11:14]
	ds_write_b128 v6, v[91:94] offset:272
	buffer_store_dword v6, off, s[60:63], 0 offset:340 ; 4-byte Folded Spill
	ds_write_b128 v6, v[95:98] offset:544
	ds_write_b128 v5, v[19:22]
	ds_write_b128 v5, v[104:107] offset:272
	buffer_store_dword v5, off, s[60:63], 0 offset:332 ; 4-byte Folded Spill
	ds_write_b128 v5, v[112:115] offset:544
	s_waitcnt lgkmcnt(0)
	s_waitcnt_vscnt null, 0x0
	s_barrier
	buffer_gl0_inv
	s_clause 0x1
	global_load_dwordx4 v[39:42], v4, s[2:3] offset:544
	global_load_dwordx4 v[45:48], v4, s[2:3] offset:560
	v_mul_lo_u16 v5, 0xa1, v116
	s_clause 0x1
	global_load_dwordx4 v[83:86], v4, s[2:3] offset:576
	global_load_dwordx4 v[59:62], v4, s[2:3] offset:592
	s_mov_b32 s9, 0xbfe2cf23
	v_lshrrev_b16 v4, 13, v5
	v_mul_lo_u16 v5, v4, 51
	v_sub_nc_u16 v5, v99, v5
	v_and_b32_e32 v5, 0xff, v5
	v_lshlrev_b32_e32 v6, 6, v5
	s_clause 0x1
	global_load_dwordx4 v[55:58], v6, s[2:3] offset:544
	global_load_dwordx4 v[51:54], v6, s[2:3] offset:560
	ds_read_b128 v[76:79], v82 offset:5712
	ds_read_b128 v[72:75], v82 offset:11424
	;; [unrolled: 1-line block ×8, first 2 shown]
	s_waitcnt vmcnt(5) lgkmcnt(7)
	v_mul_f64 v[23:24], v[78:79], v[41:42]
	s_waitcnt vmcnt(4) lgkmcnt(6)
	v_mul_f64 v[27:28], v[74:75], v[47:48]
	v_mul_f64 v[25:26], v[76:77], v[41:42]
	v_mul_f64 v[29:30], v[72:73], v[47:48]
	s_waitcnt vmcnt(3) lgkmcnt(5)
	v_mul_f64 v[31:32], v[70:71], v[85:86]
	v_mul_f64 v[33:34], v[68:69], v[85:86]
	s_waitcnt vmcnt(2) lgkmcnt(4)
	v_mul_f64 v[35:36], v[66:67], v[61:62]
	v_fma_f64 v[37:38], v[76:77], v[39:40], -v[23:24]
	buffer_store_dword v39, off, s[60:63], 0 offset:76 ; 4-byte Folded Spill
	buffer_store_dword v40, off, s[60:63], 0 offset:80 ; 4-byte Folded Spill
	;; [unrolled: 1-line block ×4, first 2 shown]
	v_fma_f64 v[43:44], v[72:73], v[45:46], -v[27:28]
	buffer_store_dword v45, off, s[60:63], 0 offset:124 ; 4-byte Folded Spill
	buffer_store_dword v46, off, s[60:63], 0 offset:128 ; 4-byte Folded Spill
	;; [unrolled: 1-line block ×4, first 2 shown]
	v_mul_f64 v[41:42], v[64:65], v[61:62]
	s_waitcnt vmcnt(0) lgkmcnt(2)
	v_mul_f64 v[49:50], v[13:14], v[53:54]
	v_fma_f64 v[49:50], v[11:12], v[51:52], -v[49:50]
	v_fma_f64 v[39:40], v[78:79], v[39:40], v[25:26]
	ds_read_b128 v[23:26], v82 offset:7616
	v_fma_f64 v[28:29], v[74:75], v[45:46], v[29:30]
	v_fma_f64 v[30:31], v[68:69], v[83:84], -v[31:32]
	buffer_store_dword v83, off, s[60:63], 0 offset:156 ; 4-byte Folded Spill
	buffer_store_dword v84, off, s[60:63], 0 offset:160 ; 4-byte Folded Spill
	;; [unrolled: 1-line block ×4, first 2 shown]
	s_waitcnt lgkmcnt(0)
	v_mul_f64 v[45:46], v[25:26], v[57:58]
	v_mul_f64 v[47:48], v[23:24], v[57:58]
	v_add_f64 v[126:127], v[43:44], -v[30:31]
	v_fma_f64 v[45:46], v[23:24], v[55:56], -v[45:46]
	v_mul_f64 v[23:24], v[11:12], v[53:54]
	v_fma_f64 v[32:33], v[70:71], v[83:84], v[33:34]
	ds_read_b128 v[68:71], v82 offset:9520
	v_fma_f64 v[34:35], v[64:65], v[59:60], -v[35:36]
	buffer_store_dword v59, off, s[60:63], 0 offset:140 ; 4-byte Folded Spill
	buffer_store_dword v60, off, s[60:63], 0 offset:144 ; 4-byte Folded Spill
	;; [unrolled: 1-line block ×12, first 2 shown]
	s_clause 0x1
	global_load_dwordx4 v[76:79], v6, s[2:3] offset:576
	global_load_dwordx4 v[72:75], v6, s[2:3] offset:592
	v_mov_b32_e32 v6, 0xa0a1
	v_mul_u32_u24_sdwa v6, v2, v6 dst_sel:DWORD dst_unused:UNUSED_PAD src0_sel:WORD_0 src1_sel:DWORD
	v_add_f64 v[122:123], v[28:29], -v[32:33]
	v_add_f64 v[124:125], v[37:38], -v[34:35]
	v_fma_f64 v[41:42], v[66:67], v[59:60], v[41:42]
	v_fma_f64 v[47:48], v[25:26], v[55:56], v[47:48]
	;; [unrolled: 1-line block ×3, first 2 shown]
	ds_read_b128 v[11:14], v82 offset:19040
	ds_read_b128 v[88:91], v82 offset:20944
	s_waitcnt vmcnt(1) lgkmcnt(1)
	v_mul_f64 v[23:24], v[13:14], v[78:79]
	v_add_f64 v[120:121], v[39:40], -v[41:42]
	v_fma_f64 v[53:54], v[11:12], v[76:77], -v[23:24]
	v_mul_f64 v[11:12], v[11:12], v[78:79]
	v_lshrrev_b32_e32 v23, 21, v6
	v_mul_lo_u16 v6, v23, 51
	v_sub_nc_u16 v63, v2, v6
	v_lshlrev_b16 v6, 6, v63
	v_and_b32_e32 v6, 0xffff, v6
	v_fma_f64 v[55:56], v[13:14], v[76:77], v[11:12]
	s_waitcnt vmcnt(0)
	v_mul_f64 v[11:12], v[17:18], v[74:75]
	v_fma_f64 v[57:58], v[15:16], v[72:73], -v[11:12]
	v_mul_f64 v[11:12], v[15:16], v[74:75]
	v_fma_f64 v[59:60], v[17:18], v[72:73], v[11:12]
	v_add_co_u32 v11, s0, s2, v6
	v_add_co_ci_u32_e64 v12, null, s3, 0, s0
	s_clause 0x1
	global_load_dwordx4 v[84:87], v[11:12], off offset:544
	global_load_dwordx4 v[24:27], v[11:12], off offset:560
	s_mov_b32 s0, 0x4755a5e
	s_mov_b32 s1, 0x3fe2cf23
	;; [unrolled: 1-line block ×3, first 2 shown]
	s_waitcnt vmcnt(1)
	v_mul_f64 v[13:14], v[70:71], v[86:87]
	v_fma_f64 v[61:62], v[68:69], v[84:85], -v[13:14]
	v_mul_f64 v[13:14], v[68:69], v[86:87]
	v_fma_f64 v[96:97], v[70:71], v[84:85], v[13:14]
	s_waitcnt vmcnt(0)
	v_mul_f64 v[13:14], v[21:22], v[26:27]
	v_fma_f64 v[98:99], v[19:20], v[24:25], -v[13:14]
	v_mul_f64 v[13:14], v[19:20], v[26:27]
	v_fma_f64 v[104:105], v[21:22], v[24:25], v[13:14]
	s_clause 0x1
	global_load_dwordx4 v[13:16], v[11:12], off offset:576
	global_load_dwordx4 v[17:20], v[11:12], off offset:592
	s_waitcnt vmcnt(1) lgkmcnt(0)
	v_mul_f64 v[11:12], v[90:91], v[15:16]
	v_fma_f64 v[106:107], v[88:89], v[13:14], -v[11:12]
	v_mul_f64 v[11:12], v[88:89], v[15:16]
	buffer_store_dword v13, off, s[60:63], 0 offset:368 ; 4-byte Folded Spill
	buffer_store_dword v14, off, s[60:63], 0 offset:372 ; 4-byte Folded Spill
	;; [unrolled: 1-line block ×4, first 2 shown]
	v_fma_f64 v[112:113], v[90:91], v[13:14], v[11:12]
	ds_read_b128 v[11:14], v82 offset:26656
	s_waitcnt vmcnt(0) lgkmcnt(0)
	v_mul_f64 v[15:16], v[13:14], v[19:20]
	v_fma_f64 v[114:115], v[11:12], v[17:18], -v[15:16]
	v_mul_f64 v[11:12], v[11:12], v[19:20]
	buffer_store_dword v17, off, s[60:63], 0 offset:352 ; 4-byte Folded Spill
	buffer_store_dword v18, off, s[60:63], 0 offset:356 ; 4-byte Folded Spill
	;; [unrolled: 1-line block ×4, first 2 shown]
	v_add_f64 v[19:20], v[43:44], v[30:31]
	v_fma_f64 v[140:141], v[13:14], v[17:18], v[11:12]
	v_add_f64 v[11:12], v[37:38], -v[43:44]
	v_add_f64 v[13:14], v[34:35], -v[30:31]
	v_add_f64 v[88:89], v[11:12], v[13:14]
	v_add_f64 v[11:12], v[39:40], -v[28:29]
	v_add_f64 v[13:14], v[41:42], -v[32:33]
	v_add_f64 v[90:91], v[11:12], v[13:14]
	ds_read_b128 v[11:14], v82
	ds_read_b128 v[15:18], v82 offset:1904
	s_waitcnt lgkmcnt(0)
	s_waitcnt_vscnt null, 0x0
	s_barrier
	buffer_gl0_inv
	v_fma_f64 v[92:93], v[19:20], -0.5, v[11:12]
	v_add_f64 v[19:20], v[28:29], v[32:33]
	v_fma_f64 v[94:95], v[19:20], -0.5, v[13:14]
	v_fma_f64 v[19:20], v[120:121], s[16:17], v[92:93]
	v_fma_f64 v[92:93], v[120:121], s[10:11], v[92:93]
	;; [unrolled: 1-line block ×10, first 2 shown]
	v_add_f64 v[88:89], v[37:38], v[34:35]
	v_add_f64 v[92:93], v[49:50], -v[53:54]
	v_fma_f64 v[21:22], v[90:91], s[18:19], v[21:22]
	v_fma_f64 v[118:119], v[90:91], s[18:19], v[94:95]
	v_add_f64 v[90:91], v[39:40], v[41:42]
	v_fma_f64 v[88:89], v[88:89], -0.5, v[11:12]
	v_add_f64 v[11:12], v[11:12], v[37:38]
	v_add_f64 v[36:37], v[43:44], -v[37:38]
	v_fma_f64 v[90:91], v[90:91], -0.5, v[13:14]
	v_add_f64 v[13:14], v[13:14], v[39:40]
	v_add_f64 v[11:12], v[11:12], v[43:44]
	;; [unrolled: 1-line block ×3, first 2 shown]
	v_add_f64 v[28:29], v[28:29], -v[39:40]
	v_add_f64 v[11:12], v[11:12], v[30:31]
	v_add_f64 v[30:31], v[30:31], -v[34:35]
	v_fma_f64 v[38:39], v[122:123], s[16:17], v[88:89]
	v_add_f64 v[13:14], v[13:14], v[32:33]
	v_add_f64 v[32:33], v[32:33], -v[41:42]
	v_add_f64 v[11:12], v[11:12], v[34:35]
	v_fma_f64 v[34:35], v[122:123], s[10:11], v[88:89]
	v_add_f64 v[30:31], v[36:37], v[30:31]
	v_add_f64 v[13:14], v[13:14], v[41:42]
	v_fma_f64 v[40:41], v[126:127], s[16:17], v[90:91]
	v_fma_f64 v[42:43], v[126:127], s[10:11], v[90:91]
	v_add_f64 v[28:29], v[28:29], v[32:33]
	v_fma_f64 v[32:33], v[120:121], s[0:1], v[34:35]
	v_fma_f64 v[34:35], v[120:121], s[8:9], v[38:39]
	;; [unrolled: 1-line block ×4, first 2 shown]
	v_add_f64 v[42:43], v[45:46], -v[57:58]
	v_fma_f64 v[120:121], v[30:31], s[18:19], v[32:33]
	v_fma_f64 v[124:125], v[30:31], s[18:19], v[34:35]
	v_add_f64 v[30:31], v[57:58], -v[53:54]
	v_add_f64 v[32:33], v[59:60], -v[55:56]
	v_add_f64 v[34:35], v[51:52], v[55:56]
	v_fma_f64 v[122:123], v[28:29], s[18:19], v[36:37]
	v_fma_f64 v[126:127], v[28:29], s[18:19], v[38:39]
	v_add_f64 v[28:29], v[45:46], -v[49:50]
	v_add_f64 v[36:37], v[47:48], -v[59:60]
	;; [unrolled: 1-line block ×3, first 2 shown]
	v_fma_f64 v[34:35], v[34:35], -0.5, v[17:18]
	v_add_f64 v[28:29], v[28:29], v[30:31]
	v_add_f64 v[30:31], v[47:48], -v[51:52]
	v_fma_f64 v[88:89], v[42:43], s[10:11], v[34:35]
	v_fma_f64 v[34:35], v[42:43], s[16:17], v[34:35]
	v_add_f64 v[30:31], v[30:31], v[32:33]
	v_add_f64 v[32:33], v[49:50], v[53:54]
	v_fma_f64 v[88:89], v[92:93], s[8:9], v[88:89]
	v_fma_f64 v[34:35], v[92:93], s[0:1], v[34:35]
	v_fma_f64 v[32:33], v[32:33], -0.5, v[15:16]
	v_fma_f64 v[130:131], v[30:31], s[18:19], v[88:89]
	v_fma_f64 v[90:91], v[30:31], s[18:19], v[34:35]
	v_add_f64 v[30:31], v[47:48], v[59:60]
	v_add_f64 v[34:35], v[51:52], -v[47:48]
	v_fma_f64 v[40:41], v[36:37], s[16:17], v[32:33]
	v_fma_f64 v[32:33], v[36:37], s[10:11], v[32:33]
	v_fma_f64 v[30:31], v[30:31], -0.5, v[17:18]
	v_add_f64 v[17:18], v[17:18], v[47:48]
	v_fma_f64 v[40:41], v[38:39], s[0:1], v[40:41]
	v_fma_f64 v[32:33], v[38:39], s[8:9], v[32:33]
	v_add_f64 v[17:18], v[17:18], v[51:52]
	v_fma_f64 v[128:129], v[28:29], s[18:19], v[40:41]
	v_fma_f64 v[88:89], v[28:29], s[18:19], v[32:33]
	v_add_f64 v[28:29], v[45:46], v[57:58]
	v_add_f64 v[32:33], v[49:50], -v[45:46]
	v_add_f64 v[40:41], v[53:54], -v[57:58]
	v_add_f64 v[17:18], v[17:18], v[55:56]
	v_fma_f64 v[28:29], v[28:29], -0.5, v[15:16]
	v_add_f64 v[15:16], v[15:16], v[45:46]
	v_add_f64 v[44:45], v[55:56], -v[59:60]
	v_add_f64 v[32:33], v[32:33], v[40:41]
	v_add_f64 v[17:18], v[17:18], v[59:60]
	v_fma_f64 v[46:47], v[38:39], s[10:11], v[28:29]
	v_fma_f64 v[28:29], v[38:39], s[16:17], v[28:29]
	;; [unrolled: 1-line block ×4, first 2 shown]
	v_add_f64 v[34:35], v[34:35], v[44:45]
	v_add_f64 v[44:45], v[98:99], -v[106:107]
	v_add_f64 v[15:16], v[15:16], v[49:50]
	v_fma_f64 v[40:41], v[36:37], s[0:1], v[46:47]
	v_fma_f64 v[28:29], v[36:37], s[8:9], v[28:29]
	;; [unrolled: 1-line block ×4, first 2 shown]
	v_add_f64 v[42:43], v[61:62], -v[114:115]
	v_add_f64 v[38:39], v[104:105], -v[112:113]
	v_add_f64 v[15:16], v[15:16], v[53:54]
	v_fma_f64 v[132:133], v[32:33], s[18:19], v[40:41]
	v_fma_f64 v[136:137], v[32:33], s[18:19], v[28:29]
	v_add_f64 v[28:29], v[61:62], -v[98:99]
	v_fma_f64 v[138:139], v[34:35], s[18:19], v[30:31]
	v_add_f64 v[30:31], v[114:115], -v[106:107]
	v_add_f64 v[32:33], v[140:141], -v[112:113]
	v_fma_f64 v[134:135], v[34:35], s[18:19], v[36:37]
	v_add_f64 v[34:35], v[104:105], v[112:113]
	v_add_f64 v[36:37], v[96:97], -v[140:141]
	v_add_f64 v[15:16], v[15:16], v[57:58]
	v_add_f64 v[28:29], v[28:29], v[30:31]
	v_add_f64 v[30:31], v[96:97], -v[104:105]
	v_fma_f64 v[34:35], v[34:35], -0.5, v[9:10]
	v_add_f64 v[30:31], v[30:31], v[32:33]
	v_add_f64 v[32:33], v[98:99], v[106:107]
	v_fma_f64 v[46:47], v[42:43], s[10:11], v[34:35]
	v_fma_f64 v[34:35], v[42:43], s[16:17], v[34:35]
	v_fma_f64 v[32:33], v[32:33], -0.5, v[7:8]
	v_fma_f64 v[46:47], v[44:45], s[8:9], v[46:47]
	v_fma_f64 v[34:35], v[44:45], s[0:1], v[34:35]
	;; [unrolled: 1-line block ×6, first 2 shown]
	v_add_f64 v[30:31], v[96:97], v[140:141]
	v_add_f64 v[34:35], v[104:105], -v[96:97]
	v_fma_f64 v[40:41], v[38:39], s[0:1], v[40:41]
	v_fma_f64 v[32:33], v[38:39], s[8:9], v[32:33]
	v_fma_f64 v[30:31], v[30:31], -0.5, v[9:10]
	v_fma_f64 v[92:93], v[28:29], s[18:19], v[40:41]
	v_fma_f64 v[160:161], v[28:29], s[18:19], v[32:33]
	v_add_f64 v[28:29], v[61:62], v[114:115]
	v_add_f64 v[32:33], v[98:99], -v[61:62]
	v_add_f64 v[40:41], v[106:107], -v[114:115]
	v_fma_f64 v[28:29], v[28:29], -0.5, v[7:8]
	v_add_f64 v[6:7], v[7:8], v[61:62]
	v_add_f64 v[8:9], v[9:10], v[96:97]
	;; [unrolled: 1-line block ×9, first 2 shown]
	v_add_f64 v[6:7], v[112:113], -v[140:141]
	v_fma_f64 v[8:9], v[38:39], s[10:11], v[28:29]
	v_fma_f64 v[28:29], v[38:39], s[16:17], v[28:29]
	;; [unrolled: 1-line block ×4, first 2 shown]
	v_add_f64 v[6:7], v[34:35], v[6:7]
	v_fma_f64 v[8:9], v[36:37], s[0:1], v[8:9]
	v_fma_f64 v[28:29], v[36:37], s[8:9], v[28:29]
	;; [unrolled: 1-line block ×4, first 2 shown]
	v_cmp_gt_u16_e64 s0, 17, v220
	v_fma_f64 v[104:105], v[32:33], s[18:19], v[8:9]
	v_fma_f64 v[112:113], v[32:33], s[18:19], v[28:29]
	;; [unrolled: 1-line block ×4, first 2 shown]
	v_mov_b32_e32 v6, 0xff
	v_mul_u32_u24_sdwa v1, v1, v6 dst_sel:DWORD dst_unused:UNUSED_PAD src0_sel:WORD_0 src1_sel:DWORD
	v_add_lshl_u32 v1, v1, v3, 4
	ds_write_b128 v1, v[11:14]
	ds_write_b128 v1, v[19:22] offset:816
	ds_write_b128 v1, v[120:123] offset:1632
	;; [unrolled: 1-line block ×3, first 2 shown]
	buffer_store_dword v1, off, s[60:63], 0 offset:384 ; 4-byte Folded Spill
	ds_write_b128 v1, v[116:119] offset:3264
	v_mul_u32_u24_sdwa v1, v4, v6 dst_sel:DWORD dst_unused:UNUSED_PAD src0_sel:WORD_0 src1_sel:DWORD
	v_add_lshl_u32 v81, v1, v5, 4
	v_mad_u16 v1, 0xff, v23, v63
	ds_write_b128 v81, v[15:18]
	ds_write_b128 v81, v[128:131] offset:816
	ds_write_b128 v81, v[132:135] offset:1632
	;; [unrolled: 1-line block ×3, first 2 shown]
	v_lshlrev_b32_sdwa v83, v0, v1 dst_sel:DWORD dst_unused:UNUSED_PAD src0_sel:DWORD src1_sel:WORD_0
	ds_write_b128 v81, v[88:91] offset:3264
	ds_write_b128 v83, v[96:99]
	ds_write_b128 v83, v[92:95] offset:816
	ds_write_b128 v83, v[104:107] offset:1632
	;; [unrolled: 1-line block ×4, first 2 shown]
	s_waitcnt lgkmcnt(0)
	s_waitcnt_vscnt null, 0x0
	s_barrier
	buffer_gl0_inv
	ds_read_b128 v[168:171], v82
	ds_read_b128 v[164:167], v82 offset:1904
	ds_read_b128 v[196:199], v82 offset:4080
	;; [unrolled: 1-line block ×13, first 2 shown]
                                        ; implicit-def: $vgpr112_vgpr113
	s_and_saveexec_b32 s1, s0
	s_cbranch_execz .LBB0_9
; %bb.8:
	ds_read_b128 v[160:163], v82 offset:3808
	ds_read_b128 v[100:103], v82 offset:7888
	;; [unrolled: 1-line block ×7, first 2 shown]
.LBB0_9:
	s_or_b32 exec_lo, exec_lo, s1
	v_mad_u64_u32 v[0:1], null, 0x60, v220, s[2:3]
	s_mov_b32 s20, 0xe976ee23
	s_mov_b32 s21, 0xbfe11646
	;; [unrolled: 1-line block ×6, first 2 shown]
	v_add_co_u32 v3, s1, 0x800, v0
	v_add_co_ci_u32_e64 v4, s1, 0, v1, s1
	v_add_co_u32 v5, s1, 0xee0, v0
	v_add_co_ci_u32_e64 v6, s1, 0, v1, s1
	global_load_dwordx4 v[88:91], v[3:4], off offset:1760
	s_mov_b32 s16, 0xaaaaaaaa
	s_clause 0x3
	global_load_dwordx4 v[148:151], v[5:6], off offset:16
	global_load_dwordx4 v[120:123], v[5:6], off offset:32
	;; [unrolled: 1-line block ×4, first 2 shown]
	v_add_co_u32 v3, s1, 0xf20, v0
	v_add_co_ci_u32_e64 v4, s1, 0, v1, s1
	s_mov_b32 s18, 0x5476071b
	s_mov_b32 s22, 0xb247c609
	;; [unrolled: 1-line block ×3, first 2 shown]
	global_load_dwordx4 v[156:159], v[3:4], off offset:16
	v_add_co_u32 v3, s1, 0x3800, v0
	v_add_co_ci_u32_e64 v4, s1, 0, v1, s1
	s_mov_b32 s19, 0x3fe77f67
	s_mov_b32 s27, 0xbfe77f67
	;; [unrolled: 1-line block ×3, first 2 shown]
	global_load_dwordx4 v[116:119], v[3:4], off offset:896
	s_mov_b32 s29, 0xbfd5d0dc
	s_mov_b32 s28, s22
	;; [unrolled: 1-line block ×5, first 2 shown]
	s_waitcnt vmcnt(6) lgkmcnt(11)
	v_mul_f64 v[5:6], v[198:199], v[90:91]
	v_mul_f64 v[7:8], v[196:197], v[90:91]
	v_fma_f64 v[28:29], v[196:197], v[88:89], -v[5:6]
	s_waitcnt vmcnt(5) lgkmcnt(9)
	v_mul_f64 v[5:6], v[194:195], v[150:151]
	v_fma_f64 v[30:31], v[198:199], v[88:89], v[7:8]
	v_mul_f64 v[7:8], v[192:193], v[150:151]
	v_fma_f64 v[32:33], v[192:193], v[148:149], -v[5:6]
	s_waitcnt vmcnt(4) lgkmcnt(7)
	v_mul_f64 v[5:6], v[190:191], v[122:123]
	v_fma_f64 v[34:35], v[194:195], v[148:149], v[7:8]
	;; [unrolled: 5-line block ×5, first 2 shown]
	v_mul_f64 v[7:8], v[128:129], v[158:159]
	v_fma_f64 v[48:49], v[128:129], v[156:157], -v[5:6]
	v_add_co_u32 v5, s1, 0x3b80, v0
	v_add_co_ci_u32_e64 v6, s1, 0, v1, s1
	v_fma_f64 v[50:51], v[130:131], v[156:157], v[7:8]
	v_add_co_u32 v0, s1, 0x3bc0, v0
	global_load_dwordx4 v[128:131], v[5:6], off offset:48
	s_waitcnt vmcnt(1)
	v_mul_f64 v[7:8], v[134:135], v[118:119]
	v_add_co_ci_u32_e64 v1, s1, 0, v1, s1
	v_fma_f64 v[10:11], v[132:133], v[116:117], -v[7:8]
	v_mul_f64 v[7:8], v[132:133], v[118:119]
	v_fma_f64 v[8:9], v[134:135], v[116:117], v[7:8]
	s_clause 0x1
	global_load_dwordx4 v[136:139], v[5:6], off offset:16
	global_load_dwordx4 v[132:135], v[5:6], off offset:32
	s_waitcnt vmcnt(1)
	v_mul_f64 v[5:6], v[146:147], v[138:139]
	v_fma_f64 v[22:23], v[144:145], v[136:137], -v[5:6]
	v_mul_f64 v[5:6], v[144:145], v[138:139]
	v_fma_f64 v[20:21], v[146:147], v[136:137], v[5:6]
	s_waitcnt vmcnt(0)
	v_mul_f64 v[5:6], v[142:143], v[134:135]
	v_fma_f64 v[186:187], v[140:141], v[132:133], -v[5:6]
	v_mul_f64 v[5:6], v[140:141], v[134:135]
	v_fma_f64 v[184:185], v[142:143], v[132:133], v[5:6]
	s_clause 0x1
	global_load_dwordx4 v[140:143], v[3:4], off offset:960
	global_load_dwordx4 v[144:147], v[0:1], off offset:16
	v_mul_f64 v[5:6], v[106:107], v[130:131]
	v_fma_f64 v[196:197], v[104:105], v[128:129], -v[5:6]
	v_mul_f64 v[5:6], v[104:105], v[130:131]
	v_fma_f64 v[104:105], v[106:107], v[128:129], v[5:6]
	s_waitcnt vmcnt(1)
	v_mul_f64 v[0:1], v[98:99], v[142:143]
	v_fma_f64 v[198:199], v[96:97], v[140:141], -v[0:1]
	v_mul_f64 v[0:1], v[96:97], v[142:143]
	v_fma_f64 v[106:107], v[98:99], v[140:141], v[0:1]
	s_waitcnt vmcnt(0) lgkmcnt(0)
	v_mul_f64 v[0:1], v[94:95], v[146:147]
	v_fma_f64 v[202:203], v[92:93], v[144:145], -v[0:1]
	v_mul_f64 v[0:1], v[92:93], v[146:147]
	v_fma_f64 v[200:201], v[94:95], v[144:145], v[0:1]
	v_subrev_nc_u32_e32 v0, 17, v220
	v_cndmask_b32_e64 v0, v0, v2, s0
	v_mul_i32_i24_e32 v1, 0x60, v0
	v_mul_hi_i32_i24_e32 v0, 0x60, v0
	v_add_co_u32 v54, s1, s2, v1
	v_add_co_ci_u32_e64 v55, s1, s3, v0, s1
	s_mov_b32 s2, 0x36b3c0b5
	v_add_co_u32 v52, s1, 0x800, v54
	v_add_co_ci_u32_e64 v53, s1, 0, v55, s1
	v_add_co_u32 v4, s1, 0xee0, v54
	v_add_co_ci_u32_e64 v5, s1, 0, v55, s1
	s_clause 0x1
	global_load_dwordx4 v[12:15], v[52:53], off offset:1760
	global_load_dwordx4 v[56:59], v[4:5], off offset:48
	v_add_co_u32 v54, s1, 0xf20, v54
	v_add_co_ci_u32_e64 v55, s1, 0, v55, s1
	s_mov_b32 s3, 0x3fac98ee
	s_waitcnt vmcnt(1)
	v_mul_f64 v[0:1], v[102:103], v[14:15]
	v_fma_f64 v[2:3], v[100:101], v[12:13], -v[0:1]
	v_mul_f64 v[0:1], v[100:101], v[14:15]
	buffer_store_dword v12, off, s[60:63], 0 offset:388 ; 4-byte Folded Spill
	buffer_store_dword v13, off, s[60:63], 0 offset:392 ; 4-byte Folded Spill
	;; [unrolled: 1-line block ×4, first 2 shown]
	v_add_f64 v[100:101], v[38:39], v[42:43]
	v_add_f64 v[38:39], v[42:43], -v[38:39]
	v_fma_f64 v[0:1], v[102:103], v[12:13], v[0:1]
	s_clause 0x1
	global_load_dwordx4 v[12:15], v[4:5], off offset:16
	global_load_dwordx4 v[16:19], v[4:5], off offset:32
	s_waitcnt vmcnt(1)
	v_mul_f64 v[4:5], v[110:111], v[14:15]
	v_fma_f64 v[6:7], v[108:109], v[12:13], -v[4:5]
	v_mul_f64 v[4:5], v[108:109], v[14:15]
	buffer_store_dword v12, off, s[60:63], 0 offset:436 ; 4-byte Folded Spill
	buffer_store_dword v13, off, s[60:63], 0 offset:440 ; 4-byte Folded Spill
	buffer_store_dword v14, off, s[60:63], 0 offset:444 ; 4-byte Folded Spill
	buffer_store_dword v15, off, s[60:63], 0 offset:448 ; 4-byte Folded Spill
	v_add_f64 v[108:109], v[10:11], v[202:203]
	v_add_f64 v[10:11], v[10:11], -v[202:203]
	v_fma_f64 v[4:5], v[110:111], v[12:13], v[4:5]
	s_waitcnt vmcnt(0)
	v_mul_f64 v[12:13], v[114:115], v[18:19]
	v_add_f64 v[110:111], v[22:23], v[198:199]
	v_add_f64 v[22:23], v[22:23], -v[198:199]
	v_fma_f64 v[14:15], v[112:113], v[16:17], -v[12:13]
	v_mul_f64 v[12:13], v[112:113], v[18:19]
	buffer_store_dword v16, off, s[60:63], 0 offset:420 ; 4-byte Folded Spill
	buffer_store_dword v17, off, s[60:63], 0 offset:424 ; 4-byte Folded Spill
	;; [unrolled: 1-line block ×4, first 2 shown]
	v_add_f64 v[112:113], v[186:187], v[196:197]
	v_fma_f64 v[12:13], v[114:115], v[16:17], v[12:13]
	v_mul_f64 v[16:17], v[174:175], v[58:59]
	v_add_f64 v[114:115], v[110:111], v[108:109]
	v_fma_f64 v[18:19], v[172:173], v[56:57], -v[16:17]
	v_mul_f64 v[16:17], v[172:173], v[58:59]
	buffer_store_dword v56, off, s[60:63], 0 offset:404 ; 4-byte Folded Spill
	buffer_store_dword v57, off, s[60:63], 0 offset:408 ; 4-byte Folded Spill
	;; [unrolled: 1-line block ×4, first 2 shown]
	v_add_f64 v[172:173], v[184:185], v[104:105]
	v_add_f64 v[114:115], v[112:113], v[114:115]
	;; [unrolled: 1-line block ×3, first 2 shown]
	v_fma_f64 v[16:17], v[174:175], v[56:57], v[16:17]
	s_clause 0x1
	global_load_dwordx4 v[56:59], v[52:53], off offset:1824
	global_load_dwordx4 v[60:63], v[54:55], off offset:16
	v_add_f64 v[54:55], v[32:33], v[44:45]
	v_add_f64 v[32:33], v[32:33], -v[44:45]
	v_add_f64 v[252:253], v[12:13], v[16:17]
	s_waitcnt vmcnt(1)
	v_mul_f64 v[52:53], v[178:179], v[58:59]
	v_fma_f64 v[94:95], v[176:177], v[56:57], -v[52:53]
	v_mul_f64 v[52:53], v[176:177], v[58:59]
	buffer_store_dword v56, off, s[60:63], 0 offset:452 ; 4-byte Folded Spill
	buffer_store_dword v57, off, s[60:63], 0 offset:456 ; 4-byte Folded Spill
	buffer_store_dword v58, off, s[60:63], 0 offset:460 ; 4-byte Folded Spill
	buffer_store_dword v59, off, s[60:63], 0 offset:464 ; 4-byte Folded Spill
	v_add_f64 v[176:177], v[14:15], v[18:19]
	v_fma_f64 v[92:93], v[178:179], v[56:57], v[52:53]
	s_waitcnt vmcnt(0)
	v_mul_f64 v[52:53], v[182:183], v[62:63]
	v_add_f64 v[56:57], v[36:37], v[40:41]
	v_add_f64 v[36:37], v[40:41], -v[36:37]
	v_fma_f64 v[98:99], v[180:181], v[60:61], -v[52:53]
	v_mul_f64 v[52:53], v[180:181], v[62:63]
	buffer_store_dword v60, off, s[60:63], 0 offset:468 ; 4-byte Folded Spill
	buffer_store_dword v61, off, s[60:63], 0 offset:472 ; 4-byte Folded Spill
	;; [unrolled: 1-line block ×4, first 2 shown]
	v_add_f64 v[62:63], v[34:35], v[46:47]
	v_add_f64 v[34:35], v[34:35], -v[46:47]
	v_add_f64 v[42:43], v[56:57], -v[54:55]
	v_add_f64 v[164:165], v[2:3], v[98:99]
	v_add_f64 v[2:3], v[2:3], -v[98:99]
	v_add_f64 v[46:47], v[100:101], -v[62:63]
	v_fma_f64 v[96:97], v[182:183], v[60:61], v[52:53]
	v_add_f64 v[52:53], v[28:29], v[48:49]
	v_add_f64 v[60:61], v[30:31], v[50:51]
	;; [unrolled: 1-line block ×3, first 2 shown]
	v_add_f64 v[28:29], v[28:29], -v[48:49]
	v_add_f64 v[30:31], v[30:31], -v[50:51]
	;; [unrolled: 1-line block ×3, first 2 shown]
	v_add_f64 v[48:49], v[36:37], v[32:33]
	v_add_f64 v[4:5], v[4:5], -v[92:93]
	v_add_f64 v[180:181], v[0:1], v[96:97]
	v_add_f64 v[58:59], v[54:55], v[52:53]
	;; [unrolled: 1-line block ×3, first 2 shown]
	v_add_f64 v[44:45], v[62:63], -v[60:61]
	v_add_f64 v[62:63], v[38:39], -v[34:35]
	;; [unrolled: 1-line block ×4, first 2 shown]
	v_add_f64 v[54:55], v[38:39], v[34:35]
	v_add_f64 v[34:35], v[34:35], -v[30:31]
	v_mul_f64 v[50:51], v[50:51], s[20:21]
	v_add_f64 v[52:53], v[52:53], -v[56:57]
	v_add_f64 v[48:49], v[48:49], v[28:29]
	v_add_f64 v[28:29], v[28:29], -v[36:37]
	v_add_f64 v[0:1], v[0:1], -v[96:97]
	v_add_f64 v[188:189], v[182:183], v[180:181]
	v_add_f64 v[58:59], v[56:57], v[58:59]
	;; [unrolled: 1-line block ×3, first 2 shown]
	v_add_f64 v[56:57], v[60:61], -v[100:101]
	v_mul_f64 v[62:63], v[62:63], s[20:21]
	v_add_f64 v[54:55], v[54:55], v[30:31]
	v_add_f64 v[30:31], v[30:31], -v[38:39]
	v_fma_f64 v[204:205], v[32:33], s[10:11], -v[50:51]
	v_mul_f64 v[32:33], v[32:33], s[10:11]
	v_mul_f64 v[36:37], v[52:53], s[24:25]
	v_fma_f64 v[52:53], v[114:115], s[16:17], v[208:209]
	v_add_f64 v[254:255], v[252:253], v[188:189]
	v_add_f64 v[192:193], v[168:169], v[58:59]
	;; [unrolled: 1-line block ×5, first 2 shown]
	v_fma_f64 v[206:207], v[34:35], s[10:11], -v[62:63]
	v_mul_f64 v[34:35], v[34:35], s[10:11]
	v_mul_f64 v[38:39], v[56:57], s[24:25]
	v_add_f64 v[20:21], v[20:21], -v[106:107]
	v_add_f64 v[8:9], v[8:9], -v[200:201]
	v_fma_f64 v[32:33], v[28:29], s[28:29], -v[32:33]
	v_fma_f64 v[28:29], v[28:29], s[22:23], v[50:51]
	v_fma_f64 v[204:205], v[48:49], s[8:9], v[204:205]
	v_add_f64 v[190:191], v[162:163], v[254:255]
	v_mul_f64 v[162:163], v[46:47], s[2:3]
	v_fma_f64 v[58:59], v[58:59], s[16:17], v[192:193]
	v_fma_f64 v[102:103], v[102:103], s[16:17], v[194:195]
	v_add_f64 v[174:175], v[170:171], v[168:169]
	v_fma_f64 v[206:207], v[54:55], s[8:9], v[206:207]
	v_fma_f64 v[34:35], v[30:31], s[28:29], -v[34:35]
	v_fma_f64 v[30:31], v[30:31], s[22:23], v[62:63]
	v_fma_f64 v[32:33], v[48:49], s[8:9], v[32:33]
	;; [unrolled: 1-line block ×3, first 2 shown]
	v_fma_f64 v[162:163], v[44:45], s[18:19], -v[162:163]
	v_fma_f64 v[44:45], v[44:45], s[26:27], -v[38:39]
	v_add_f64 v[174:175], v[172:173], v[174:175]
	v_fma_f64 v[34:35], v[54:55], s[8:9], v[34:35]
	v_fma_f64 v[30:31], v[54:55], s[8:9], v[30:31]
	v_add_f64 v[162:163], v[162:163], v[102:103]
	v_add_f64 v[44:45], v[44:45], v[102:103]
	;; [unrolled: 1-line block ×4, first 2 shown]
	v_add_f64 v[6:7], v[6:7], -v[94:95]
	v_add_f64 v[242:243], v[204:205], v[162:163]
	v_add_f64 v[246:247], v[44:45], -v[32:33]
	v_add_f64 v[226:227], v[32:33], v[44:45]
	v_fma_f64 v[32:33], v[42:43], s[2:3], v[36:37]
	v_add_f64 v[178:179], v[166:167], v[164:165]
	v_fma_f64 v[54:55], v[174:175], s[16:17], v[210:211]
	v_add_f64 v[222:223], v[162:163], -v[204:205]
	v_add_f64 v[32:33], v[32:33], v[58:59]
	v_add_f64 v[178:179], v[176:177], v[178:179]
	;; [unrolled: 1-line block ×4, first 2 shown]
	v_mul_f64 v[160:161], v[42:43], s[2:3]
	v_add_f64 v[228:229], v[32:33], -v[30:31]
	v_add_f64 v[30:31], v[104:105], -v[184:185]
	;; [unrolled: 1-line block ×3, first 2 shown]
	v_fma_f64 v[160:161], v[40:41], s[18:19], -v[160:161]
	v_fma_f64 v[40:41], v[40:41], s[26:27], -v[36:37]
	v_add_f64 v[36:37], v[170:171], -v[168:169]
	v_add_f64 v[44:45], v[30:31], v[20:21]
	v_add_f64 v[160:161], v[160:161], v[58:59]
	;; [unrolled: 1-line block ×4, first 2 shown]
	v_add_f64 v[240:241], v[160:161], -v[206:207]
	v_add_f64 v[244:245], v[34:35], v[40:41]
	v_add_f64 v[224:225], v[40:41], -v[34:35]
	v_fma_f64 v[34:35], v[46:47], s[2:3], v[38:39]
	v_add_f64 v[38:39], v[172:173], -v[170:171]
	v_add_f64 v[46:47], v[30:31], -v[20:21]
	;; [unrolled: 1-line block ×4, first 2 shown]
	v_add_f64 v[220:221], v[206:207], v[160:161]
	v_add_f64 v[34:35], v[34:35], v[102:103]
	v_mul_f64 v[50:51], v[38:39], s[2:3]
	v_mul_f64 v[46:47], v[46:47], s[20:21]
	v_add_f64 v[250:251], v[34:35], -v[28:29]
	v_add_f64 v[230:231], v[28:29], v[34:35]
	v_add_f64 v[28:29], v[196:197], -v[186:187]
	v_add_f64 v[34:35], v[112:113], -v[110:111]
	v_fma_f64 v[50:51], v[36:37], s[18:19], -v[50:51]
	v_fma_f64 v[58:59], v[20:21], s[10:11], -v[46:47]
	v_mul_f64 v[20:21], v[20:21], s[10:11]
	v_add_f64 v[42:43], v[28:29], -v[22:23]
	v_add_f64 v[40:41], v[28:29], v[22:23]
	v_add_f64 v[22:23], v[22:23], -v[10:11]
	v_mul_f64 v[48:49], v[34:35], s[2:3]
	v_fma_f64 v[58:59], v[44:45], s[8:9], v[58:59]
	v_add_f64 v[50:51], v[50:51], v[54:55]
	v_fma_f64 v[20:21], v[8:9], s[28:29], -v[20:21]
	v_fma_f64 v[8:9], v[8:9], s[22:23], v[46:47]
	v_mul_f64 v[42:43], v[42:43], s[20:21]
	v_add_f64 v[40:41], v[40:41], v[10:11]
	v_add_f64 v[10:11], v[10:11], -v[28:29]
	v_fma_f64 v[48:49], v[32:33], s[18:19], -v[48:49]
	v_fma_f64 v[20:21], v[44:45], s[8:9], v[20:21]
	v_fma_f64 v[8:9], v[44:45], s[8:9], v[8:9]
	v_fma_f64 v[56:57], v[22:23], s[10:11], -v[42:43]
	v_mul_f64 v[22:23], v[22:23], s[10:11]
	v_add_f64 v[48:49], v[48:49], v[52:53]
	v_fma_f64 v[56:57], v[40:41], s[8:9], v[56:57]
	v_fma_f64 v[22:23], v[10:11], s[28:29], -v[22:23]
	v_fma_f64 v[10:11], v[10:11], s[22:23], v[42:43]
	v_add_f64 v[216:217], v[48:49], -v[58:59]
	v_add_f64 v[212:213], v[58:59], v[48:49]
	v_add_f64 v[48:49], v[108:109], -v[112:113]
	v_add_f64 v[218:219], v[56:57], v[50:51]
	v_add_f64 v[214:215], v[50:51], -v[56:57]
	v_add_f64 v[50:51], v[168:169], -v[172:173]
	v_fma_f64 v[22:23], v[40:41], s[8:9], v[22:23]
	v_fma_f64 v[10:11], v[40:41], s[8:9], v[10:11]
	v_mul_f64 v[28:29], v[48:49], s[24:25]
	v_mul_f64 v[30:31], v[50:51], s[24:25]
	v_fma_f64 v[32:33], v[32:33], s[26:27], -v[28:29]
	v_fma_f64 v[36:37], v[36:37], s[26:27], -v[30:31]
	v_add_f64 v[32:33], v[32:33], v[52:53]
	v_add_f64 v[36:37], v[36:37], v[54:55]
	v_add_f64 v[232:233], v[20:21], v[32:33]
	v_add_f64 v[204:205], v[32:33], -v[20:21]
	v_fma_f64 v[20:21], v[34:35], s[2:3], v[28:29]
	v_add_f64 v[234:235], v[36:37], -v[22:23]
	v_add_f64 v[206:207], v[22:23], v[36:37]
	v_fma_f64 v[22:23], v[38:39], s[2:3], v[30:31]
	v_fma_f64 v[36:37], v[178:179], s[16:17], v[188:189]
	v_fma_f64 v[38:39], v[254:255], s[16:17], v[190:191]
	v_add_f64 v[20:21], v[20:21], v[52:53]
	v_add_f64 v[22:23], v[22:23], v[54:55]
	;; [unrolled: 1-line block ×3, first 2 shown]
	v_add_f64 v[200:201], v[20:21], -v[8:9]
	v_add_f64 v[8:9], v[18:19], -v[14:15]
	;; [unrolled: 1-line block ×5, first 2 shown]
	v_add_f64 v[202:203], v[10:11], v[22:23]
	v_add_f64 v[10:11], v[16:17], -v[12:13]
	v_add_f64 v[12:13], v[166:167], -v[164:165]
	;; [unrolled: 1-line block ×4, first 2 shown]
	v_add_f64 v[20:21], v[8:9], v[6:7]
	v_add_f64 v[6:7], v[6:7], -v[2:3]
	v_mul_f64 v[32:33], v[14:15], s[2:3]
	v_mul_f64 v[34:35], v[18:19], s[2:3]
	v_add_f64 v[30:31], v[10:11], -v[4:5]
	v_add_f64 v[28:29], v[10:11], v[4:5]
	v_add_f64 v[4:5], v[4:5], -v[0:1]
	v_mul_f64 v[22:23], v[22:23], s[20:21]
	v_add_f64 v[20:21], v[20:21], v[2:3]
	v_add_f64 v[2:3], v[2:3], -v[8:9]
	v_fma_f64 v[32:33], v[12:13], s[18:19], -v[32:33]
	v_fma_f64 v[34:35], v[16:17], s[18:19], -v[34:35]
	v_mul_f64 v[30:31], v[30:31], s[20:21]
	v_add_f64 v[28:29], v[28:29], v[0:1]
	v_add_f64 v[0:1], v[0:1], -v[10:11]
	v_fma_f64 v[40:41], v[6:7], s[10:11], -v[22:23]
	v_mul_f64 v[6:7], v[6:7], s[10:11]
	v_add_f64 v[32:33], v[32:33], v[36:37]
	v_add_f64 v[34:35], v[34:35], v[38:39]
	v_fma_f64 v[42:43], v[4:5], s[10:11], -v[30:31]
	v_mul_f64 v[4:5], v[4:5], s[10:11]
	v_fma_f64 v[40:41], v[20:21], s[8:9], v[40:41]
	v_fma_f64 v[6:7], v[2:3], s[28:29], -v[6:7]
	v_fma_f64 v[2:3], v[2:3], s[22:23], v[22:23]
	v_fma_f64 v[42:43], v[28:29], s[8:9], v[42:43]
	v_fma_f64 v[4:5], v[0:1], s[28:29], -v[4:5]
	v_fma_f64 v[0:1], v[0:1], s[22:23], v[30:31]
	v_add_f64 v[46:47], v[40:41], v[34:35]
	v_add_f64 v[34:35], v[34:35], -v[40:41]
	v_fma_f64 v[6:7], v[20:21], s[8:9], v[6:7]
	v_fma_f64 v[2:3], v[20:21], s[8:9], v[2:3]
	v_add_f64 v[44:45], v[32:33], -v[42:43]
	v_add_f64 v[32:33], v[42:43], v[32:33]
	buffer_store_dword v44, off, s[60:63], 0 offset:12 ; 4-byte Folded Spill
	buffer_store_dword v45, off, s[60:63], 0 offset:16 ; 4-byte Folded Spill
	;; [unrolled: 1-line block ×8, first 2 shown]
	v_add_f64 v[32:33], v[164:165], -v[176:177]
	v_add_f64 v[34:35], v[180:181], -v[252:253]
	v_fma_f64 v[4:5], v[28:29], s[8:9], v[4:5]
	v_fma_f64 v[0:1], v[28:29], s[8:9], v[0:1]
	v_mul_f64 v[8:9], v[32:33], s[24:25]
	v_mul_f64 v[10:11], v[34:35], s[24:25]
	v_fma_f64 v[12:13], v[12:13], s[26:27], -v[8:9]
	v_fma_f64 v[16:17], v[16:17], s[26:27], -v[10:11]
	v_add_f64 v[12:13], v[12:13], v[36:37]
	v_add_f64 v[16:17], v[16:17], v[38:39]
	;; [unrolled: 1-line block ×3, first 2 shown]
	v_add_f64 v[186:187], v[16:17], -v[6:7]
	v_add_f64 v[4:5], v[12:13], -v[4:5]
	v_add_f64 v[6:7], v[6:7], v[16:17]
	buffer_store_dword v4, off, s[60:63], 0 offset:44 ; 4-byte Folded Spill
	buffer_store_dword v5, off, s[60:63], 0 offset:48 ; 4-byte Folded Spill
	;; [unrolled: 1-line block ×4, first 2 shown]
	v_fma_f64 v[4:5], v[14:15], s[2:3], v[8:9]
	v_fma_f64 v[6:7], v[18:19], s[2:3], v[10:11]
	v_add_f64 v[4:5], v[4:5], v[36:37]
	v_add_f64 v[6:7], v[6:7], v[38:39]
	;; [unrolled: 1-line block ×3, first 2 shown]
	v_add_f64 v[198:199], v[6:7], -v[2:3]
	v_add_f64 v[0:1], v[4:5], -v[0:1]
	v_add_f64 v[2:3], v[2:3], v[6:7]
	buffer_store_dword v0, off, s[60:63], 0 offset:60 ; 4-byte Folded Spill
	buffer_store_dword v1, off, s[60:63], 0 offset:64 ; 4-byte Folded Spill
	;; [unrolled: 1-line block ×4, first 2 shown]
	ds_write_b128 v82, v[192:195]
	ds_write_b128 v82, v[248:251] offset:4080
	ds_write_b128 v82, v[244:247] offset:8160
	;; [unrolled: 1-line block ×13, first 2 shown]
	s_and_saveexec_b32 s1, s0
	s_cbranch_execz .LBB0_11
; %bb.10:
	ds_write_b128 v82, v[188:191] offset:3808
	ds_write_b128 v82, v[196:199] offset:7888
	;; [unrolled: 1-line block ×3, first 2 shown]
	s_clause 0x3
	buffer_load_dword v0, off, s[60:63], 0 offset:12
	buffer_load_dword v1, off, s[60:63], 0 offset:16
	buffer_load_dword v2, off, s[60:63], 0 offset:20
	buffer_load_dword v3, off, s[60:63], 0 offset:24
	s_waitcnt vmcnt(0)
	ds_write_b128 v82, v[0:3] offset:16048
	s_clause 0x3
	buffer_load_dword v0, off, s[60:63], 0 offset:28
	buffer_load_dword v1, off, s[60:63], 0 offset:32
	buffer_load_dword v2, off, s[60:63], 0 offset:36
	buffer_load_dword v3, off, s[60:63], 0 offset:40
	s_waitcnt vmcnt(0)
	ds_write_b128 v82, v[0:3] offset:20128
	;; [unrolled: 7-line block ×4, first 2 shown]
.LBB0_11:
	s_or_b32 exec_lo, exec_lo, s1
	s_waitcnt lgkmcnt(0)
	s_waitcnt_vscnt null, 0x0
	s_barrier
	buffer_gl0_inv
	s_and_saveexec_b32 s2, vcc_lo
	s_cbranch_execz .LBB0_13
; %bb.12:
	v_add_co_u32 v0, s1, s12, v80
	v_add_co_ci_u32_e64 v1, null, s13, 0, s1
	v_add_co_u32 v2, s1, 0x6800, v0
	v_add_co_ci_u32_e64 v3, s1, 0, v1, s1
	global_load_dwordx4 v[176:179], v[2:3], off offset:1936
	v_add_co_u32 v2, s1, 0x6f90, v0
	v_add_co_ci_u32_e64 v3, s1, 0, v1, s1
	v_add_co_u32 v4, s1, 0x7800, v0
	v_add_co_ci_u32_e64 v5, s1, 0, v1, s1
	global_load_dwordx4 v[180:183], v[2:3], off offset:1680
	v_add_co_u32 v2, s1, 0x8000, v0
	v_add_co_ci_u32_e64 v3, s1, 0, v1, s1
	s_clause 0x1
	global_load_dwordx4 v[160:163], v[4:5], off offset:1200
	global_load_dwordx4 v[252:255], v[2:3], off offset:832
	v_add_co_u32 v2, s1, 0x8800, v0
	v_add_co_ci_u32_e64 v3, s1, 0, v1, s1
	v_add_co_u32 v4, s1, 0x9000, v0
	v_add_co_ci_u32_e64 v5, s1, 0, v1, s1
	s_clause 0x2
	global_load_dwordx4 v[168:171], v[2:3], off offset:464
	global_load_dwordx4 v[164:167], v[4:5], off offset:96
	;; [unrolled: 1-line block ×3, first 2 shown]
	v_add_co_u32 v2, s1, 0x9800, v0
	v_add_co_ci_u32_e64 v3, s1, 0, v1, s1
	v_add_co_u32 v6, s1, 0xa000, v0
	v_add_co_ci_u32_e64 v7, s1, 0, v1, s1
	;; [unrolled: 2-line block ×3, first 2 shown]
	global_load_dwordx4 v[6:9], v[6:7], off offset:1040
	v_add_co_u32 v18, s1, 0xb000, v0
	s_clause 0x1
	global_load_dwordx4 v[10:13], v[10:11], off offset:672
	global_load_dwordx4 v[2:5], v[2:3], off offset:1408
	v_add_co_ci_u32_e64 v19, s1, 0, v1, s1
	v_add_co_u32 v22, s1, 0xb800, v0
	v_add_co_ci_u32_e64 v23, s1, 0, v1, s1
	v_add_co_u32 v28, s1, 0xc000, v0
	;; [unrolled: 2-line block ×3, first 2 shown]
	v_add_co_ci_u32_e64 v31, s1, 0, v1, s1
	s_clause 0x2
	global_load_dwordx4 v[14:17], v[18:19], off offset:304
	global_load_dwordx4 v[18:21], v[18:19], off offset:1984
	;; [unrolled: 1-line block ×3, first 2 shown]
	v_add_co_u32 v22, s1, 0xd000, v0
	v_add_co_ci_u32_e64 v23, s1, 0, v1, s1
	v_add_co_u32 v0, s1, 0xd800, v0
	v_add_co_ci_u32_e64 v1, s1, 0, v1, s1
	s_clause 0x3
	global_load_dwordx4 v[96:99], v[28:29], off offset:1248
	global_load_dwordx4 v[100:103], v[30:31], off offset:880
	;; [unrolled: 1-line block ×4, first 2 shown]
	ds_read_b128 v[112:115], v82
	s_waitcnt vmcnt(16) lgkmcnt(0)
	v_mul_f64 v[0:1], v[114:115], v[178:179]
	v_mul_f64 v[22:23], v[112:113], v[178:179]
	v_fma_f64 v[112:113], v[112:113], v[176:177], -v[0:1]
	v_fma_f64 v[114:115], v[114:115], v[176:177], v[22:23]
	ds_write_b128 v82, v[112:115]
	ds_read_b128 v[112:115], v80 offset:1680
	ds_read_b128 v[176:179], v80 offset:3360
	;; [unrolled: 1-line block ×9, first 2 shown]
	s_waitcnt vmcnt(15) lgkmcnt(8)
	v_mul_f64 v[0:1], v[114:115], v[182:183]
	v_mul_f64 v[22:23], v[112:113], v[182:183]
	s_waitcnt vmcnt(14) lgkmcnt(7)
	v_mul_f64 v[56:57], v[178:179], v[162:163]
	v_mul_f64 v[58:59], v[176:177], v[162:163]
	;; [unrolled: 3-line block ×4, first 2 shown]
	s_waitcnt vmcnt(11) lgkmcnt(4)
	v_mul_f64 v[170:171], v[38:39], v[166:167]
	s_waitcnt vmcnt(7) lgkmcnt(2)
	v_mul_f64 v[70:71], v[46:47], v[4:5]
	v_mul_f64 v[4:5], v[44:45], v[4:5]
	;; [unrolled: 1-line block ×3, first 2 shown]
	v_fma_f64 v[112:113], v[112:113], v[180:181], -v[0:1]
	v_fma_f64 v[114:115], v[114:115], v[180:181], v[22:23]
	ds_read_b128 v[180:183], v80 offset:15120
	v_mul_f64 v[0:1], v[42:43], v[174:175]
	v_mul_f64 v[22:23], v[40:41], v[174:175]
	v_fma_f64 v[174:175], v[176:177], v[160:161], -v[56:57]
	v_fma_f64 v[176:177], v[178:179], v[160:161], v[58:59]
	s_waitcnt lgkmcnt(2)
	v_mul_f64 v[178:179], v[50:51], v[8:9]
	v_mul_f64 v[8:9], v[48:49], v[8:9]
	v_fma_f64 v[28:29], v[28:29], v[252:253], -v[60:61]
	v_fma_f64 v[30:31], v[30:31], v[252:253], v[62:63]
	ds_read_b128 v[160:163], v80 offset:18480
	ds_read_b128 v[252:255], v80 offset:20160
	v_fma_f64 v[32:33], v[32:33], v[168:169], -v[64:65]
	v_fma_f64 v[34:35], v[34:35], v[168:169], v[66:67]
	ds_read_b128 v[166:169], v80 offset:21840
	ds_read_b128 v[56:59], v80 offset:23520
	;; [unrolled: 1-line block ×3, first 2 shown]
	v_fma_f64 v[36:37], v[36:37], v[164:165], -v[170:171]
	v_fma_f64 v[38:39], v[38:39], v[164:165], v[68:69]
	s_waitcnt lgkmcnt(5)
	v_mul_f64 v[64:65], v[182:183], v[12:13]
	v_mul_f64 v[12:13], v[180:181], v[12:13]
	v_fma_f64 v[40:41], v[40:41], v[172:173], -v[0:1]
	v_fma_f64 v[42:43], v[42:43], v[172:173], v[22:23]
	ds_read_b128 v[170:173], v80 offset:26880
	s_waitcnt vmcnt(6)
	v_mul_f64 v[22:23], v[54:55], v[16:17]
	v_mul_f64 v[16:17], v[52:53], v[16:17]
	v_fma_f64 v[0:1], v[44:45], v[2:3], -v[70:71]
	s_waitcnt vmcnt(5) lgkmcnt(5)
	v_mul_f64 v[44:45], v[162:163], v[20:21]
	v_mul_f64 v[20:21], v[160:161], v[20:21]
	v_fma_f64 v[2:3], v[46:47], v[2:3], v[4:5]
	s_waitcnt vmcnt(4) lgkmcnt(4)
	v_mul_f64 v[46:47], v[254:255], v[94:95]
	v_mul_f64 v[66:67], v[252:253], v[94:95]
	v_fma_f64 v[4:5], v[48:49], v[6:7], -v[178:179]
	v_fma_f64 v[6:7], v[50:51], v[6:7], v[8:9]
	s_waitcnt vmcnt(3) lgkmcnt(3)
	v_mul_f64 v[48:49], v[168:169], v[98:99]
	v_mul_f64 v[50:51], v[166:167], v[98:99]
	s_waitcnt vmcnt(2) lgkmcnt(2)
	v_mul_f64 v[68:69], v[58:59], v[102:103]
	v_mul_f64 v[70:71], v[56:57], v[102:103]
	s_waitcnt vmcnt(1) lgkmcnt(1)
	v_mul_f64 v[94:95], v[60:61], v[106:107]
	v_fma_f64 v[8:9], v[180:181], v[10:11], -v[64:65]
	v_mul_f64 v[64:65], v[62:63], v[106:107]
	v_fma_f64 v[10:11], v[182:183], v[10:11], v[12:13]
	s_waitcnt vmcnt(0) lgkmcnt(0)
	v_mul_f64 v[98:99], v[172:173], v[110:111]
	v_mul_f64 v[102:103], v[170:171], v[110:111]
	v_fma_f64 v[12:13], v[52:53], v[14:15], -v[22:23]
	v_fma_f64 v[14:15], v[54:55], v[14:15], v[16:17]
	v_fma_f64 v[16:17], v[160:161], v[18:19], -v[44:45]
	v_fma_f64 v[18:19], v[162:163], v[18:19], v[20:21]
	;; [unrolled: 2-line block ×5, first 2 shown]
	v_fma_f64 v[54:55], v[62:63], v[104:105], v[94:95]
	v_fma_f64 v[52:53], v[60:61], v[104:105], -v[64:65]
	v_fma_f64 v[56:57], v[170:171], v[108:109], -v[98:99]
	v_fma_f64 v[58:59], v[172:173], v[108:109], v[102:103]
	ds_write_b128 v80, v[112:115] offset:1680
	ds_write_b128 v80, v[174:177] offset:3360
	;; [unrolled: 1-line block ×16, first 2 shown]
.LBB0_13:
	s_or_b32 exec_lo, exec_lo, s2
	s_waitcnt lgkmcnt(0)
	s_barrier
	buffer_gl0_inv
	s_and_saveexec_b32 s1, vcc_lo
	s_cbranch_execz .LBB0_15
; %bb.14:
	ds_read_b128 v[192:195], v82
	ds_read_b128 v[248:251], v82 offset:1680
	ds_read_b128 v[244:247], v82 offset:3360
	;; [unrolled: 1-line block ×16, first 2 shown]
.LBB0_15:
	s_or_b32 exec_lo, exec_lo, s1
	s_waitcnt lgkmcnt(0)
	v_add_f64 v[162:163], v[250:251], -v[186:187]
	s_mov_b32 s2, 0x5d8e7cdc
	s_mov_b32 s3, 0xbfd71e95
	v_add_f64 v[16:17], v[250:251], v[186:187]
	s_mov_b32 s10, 0x370991
	s_mov_b32 s11, 0x3fedd6d0
	v_add_f64 v[160:161], v[248:249], v[184:185]
	v_add_f64 v[170:171], v[246:247], -v[198:199]
	s_mov_b32 s22, 0x2a9d6da3
	s_mov_b32 s23, 0xbfe58eea
	v_add_f64 v[164:165], v[244:245], v[196:197]
	v_add_f64 v[18:19], v[248:249], -v[184:185]
	v_add_f64 v[252:253], v[246:247], v[198:199]
	v_add_f64 v[166:167], v[242:243], -v[190:191]
	s_mov_b32 s8, 0x75d4884
	s_mov_b32 s24, 0x7c9e640b
	;; [unrolled: 1-line block ×4, first 2 shown]
	v_add_f64 v[174:175], v[244:245], -v[196:197]
	v_add_f64 v[168:169], v[240:241], v[188:189]
	v_add_f64 v[98:99], v[242:243], v[190:191]
	v_add_f64 v[254:255], v[222:223], -v[202:203]
	v_mul_f64 v[0:1], v[162:163], s[2:3]
	s_mov_b32 s16, 0x2b2883cd
	s_mov_b32 s18, 0xeb564b22
	v_mul_f64 v[2:3], v[16:17], s[10:11]
	s_mov_b32 s17, 0x3fdc86fa
	s_mov_b32 s19, 0xbfefdd0d
	v_add_f64 v[96:97], v[240:241], -v[188:189]
	v_mul_f64 v[34:35], v[170:171], s[22:23]
	v_add_f64 v[172:173], v[220:221], v[200:201]
	v_add_f64 v[104:105], v[222:223], v[202:203]
	s_mov_b32 s20, 0x3259b75e
	s_mov_b32 s21, 0x3fb79ee6
	v_mul_f64 v[38:39], v[252:253], s[8:9]
	v_mul_f64 v[36:37], v[166:167], s[24:25]
	v_add_f64 v[108:109], v[220:221], -v[200:201]
	v_add_f64 v[100:101], v[226:227], -v[206:207]
	s_mov_b32 s38, 0x923c349f
	s_mov_b32 s39, 0xbfeec746
	v_add_f64 v[102:103], v[224:225], v[204:205]
	v_mul_f64 v[28:29], v[170:171], s[18:19]
	v_mul_f64 v[50:51], v[98:99], s[16:17]
	v_mul_f64 v[44:45], v[254:255], s[18:19]
	buffer_store_dword v0, off, s[60:63], 0 offset:548 ; 4-byte Folded Spill
	buffer_store_dword v1, off, s[60:63], 0 offset:552 ; 4-byte Folded Spill
	;; [unrolled: 1-line block ×4, first 2 shown]
	s_mov_b32 s34, 0xc61f0d01
	s_mov_b32 s35, 0xbfd183b1
	v_add_f64 v[114:115], v[230:231], -v[214:215]
	v_fma_f64 v[4:5], v[164:165], s[8:9], -v[34:35]
	buffer_store_dword v28, off, s[60:63], 0 offset:508 ; 4-byte Folded Spill
	buffer_store_dword v29, off, s[60:63], 0 offset:512 ; 4-byte Folded Spill
	v_fma_f64 v[6:7], v[174:175], s[22:23], v[38:39]
	v_fma_f64 v[8:9], v[168:169], s[16:17], -v[36:37]
	v_mul_f64 v[46:47], v[104:105], s[20:21]
	v_mul_f64 v[40:41], v[100:101], s[38:39]
	s_mov_b32 s28, 0x6c9a05f6
	s_mov_b32 s29, 0xbfe9895b
	v_add_f64 v[112:113], v[228:229], v[212:213]
	v_add_f64 v[12:13], v[230:231], v[214:215]
	v_mul_f64 v[52:53], v[114:115], s[28:29]
	s_mov_b32 s26, 0x6ed5f1bb
	s_mov_b32 s27, 0xbfe348c8
	v_add_f64 v[14:15], v[228:229], -v[212:213]
	v_mul_f64 v[32:33], v[252:253], s[20:21]
	buffer_store_dword v32, off, s[60:63], 0 offset:540 ; 4-byte Folded Spill
	buffer_store_dword v33, off, s[60:63], 0 offset:544 ; 4-byte Folded Spill
	v_mul_f64 v[60:61], v[12:13], s[26:27]
	s_mov_b32 s44, 0x4363dd80
	s_mov_b32 s45, 0x3fe0d888
	;; [unrolled: 1-line block ×4, first 2 shown]
	v_add_f64 v[110:111], v[208:209], v[216:217]
	s_mov_b32 s30, 0x910ea3b9
	s_mov_b32 s31, 0xbfeb34fa
	v_add_f64 v[10:11], v[208:209], -v[216:217]
	v_add_f64 v[106:107], v[238:239], -v[234:235]
	s_mov_b32 s51, 0xbfc7851a
	s_mov_b32 s50, 0xacd6c6b4
	v_add_f64 v[92:93], v[236:237], v[232:233]
	v_add_f64 v[94:95], v[238:239], v[234:235]
	s_mov_b32 s49, 0x3feec746
	s_mov_b32 s48, s38
	v_mul_f64 v[70:71], v[12:13], s[34:35]
	v_mul_f64 v[68:69], v[114:115], s[48:49]
	s_mov_b32 s47, 0x3feca52d
	s_mov_b32 s46, s24
	;; [unrolled: 1-line block ×4, first 2 shown]
	v_mul_f64 v[42:43], v[106:107], s[50:51]
	v_mul_f64 v[62:63], v[106:107], s[42:43]
	;; [unrolled: 1-line block ×3, first 2 shown]
	v_fma_f64 v[0:1], v[160:161], s[10:11], -v[0:1]
	v_fma_f64 v[2:3], v[18:19], s[2:3], v[2:3]
	v_fma_f64 v[28:29], v[164:165], s[20:21], -v[28:29]
	v_add_f64 v[0:1], v[192:193], v[0:1]
	v_add_f64 v[2:3], v[194:195], v[2:3]
	;; [unrolled: 1-line block ×3, first 2 shown]
	v_fma_f64 v[4:5], v[96:97], s[24:25], v[50:51]
	v_add_f64 v[2:3], v[6:7], v[2:3]
	v_fma_f64 v[6:7], v[172:173], s[20:21], -v[44:45]
	v_fma_f64 v[32:33], v[174:175], s[18:19], v[32:33]
	v_add_f64 v[0:1], v[8:9], v[0:1]
	v_add_f64 v[8:9], v[224:225], -v[204:205]
	v_add_f64 v[2:3], v[4:5], v[2:3]
	v_fma_f64 v[4:5], v[108:109], s[18:19], v[46:47]
	v_add_f64 v[0:1], v[6:7], v[0:1]
	v_add_f64 v[6:7], v[226:227], v[206:207]
	;; [unrolled: 1-line block ×3, first 2 shown]
	v_fma_f64 v[4:5], v[102:103], s[34:35], -v[40:41]
	v_mul_f64 v[56:57], v[6:7], s[34:35]
	v_add_f64 v[0:1], v[4:5], v[0:1]
	v_fma_f64 v[4:5], v[8:9], s[38:39], v[56:57]
	v_add_f64 v[2:3], v[4:5], v[2:3]
	v_fma_f64 v[4:5], v[112:113], s[26:27], -v[52:53]
	v_add_f64 v[0:1], v[4:5], v[0:1]
	v_fma_f64 v[4:5], v[14:15], s[28:29], v[60:61]
	v_add_f64 v[20:21], v[4:5], v[2:3]
	v_add_f64 v[2:3], v[210:211], -v[218:219]
	v_mul_f64 v[54:55], v[2:3], s[36:37]
	v_mul_f64 v[64:65], v[2:3], s[46:47]
	v_fma_f64 v[4:5], v[110:111], s[30:31], -v[54:55]
	v_add_f64 v[0:1], v[4:5], v[0:1]
	v_add_f64 v[4:5], v[210:211], v[218:219]
	v_mul_f64 v[58:59], v[4:5], s[30:31]
	v_mul_f64 v[66:67], v[4:5], s[16:17]
	v_fma_f64 v[22:23], v[10:11], s[36:37], v[58:59]
	v_add_f64 v[20:21], v[22:23], v[20:21]
	v_fma_f64 v[22:23], v[92:93], s[40:41], -v[42:43]
	v_add_f64 v[176:177], v[22:23], v[0:1]
	v_add_f64 v[0:1], v[236:237], -v[232:233]
	v_fma_f64 v[22:23], v[0:1], s[50:51], v[48:49]
	v_add_f64 v[178:179], v[22:23], v[20:21]
	v_mul_f64 v[20:21], v[162:163], s[22:23]
	v_fma_f64 v[22:23], v[160:161], s[8:9], -v[20:21]
	v_add_f64 v[22:23], v[192:193], v[22:23]
	v_add_f64 v[28:29], v[28:29], v[22:23]
	v_mul_f64 v[22:23], v[16:17], s[8:9]
	v_fma_f64 v[30:31], v[18:19], s[22:23], v[22:23]
	v_add_f64 v[30:31], v[194:195], v[30:31]
	v_add_f64 v[30:31], v[32:33], v[30:31]
	v_mul_f64 v[32:33], v[166:167], s[28:29]
	buffer_store_dword v32, off, s[60:63], 0 offset:524 ; 4-byte Folded Spill
	buffer_store_dword v33, off, s[60:63], 0 offset:528 ; 4-byte Folded Spill
	v_fma_f64 v[32:33], v[168:169], s[26:27], -v[32:33]
	v_add_f64 v[28:29], v[32:33], v[28:29]
	v_mul_f64 v[32:33], v[98:99], s[26:27]
	buffer_store_dword v32, off, s[60:63], 0 offset:532 ; 4-byte Folded Spill
	buffer_store_dword v33, off, s[60:63], 0 offset:536 ; 4-byte Folded Spill
	v_fma_f64 v[32:33], v[96:97], s[28:29], v[32:33]
	v_add_f64 v[30:31], v[32:33], v[30:31]
	v_mul_f64 v[32:33], v[254:255], s[50:51]
	buffer_store_dword v32, off, s[60:63], 0 offset:500 ; 4-byte Folded Spill
	buffer_store_dword v33, off, s[60:63], 0 offset:504 ; 4-byte Folded Spill
	v_fma_f64 v[32:33], v[172:173], s[40:41], -v[32:33]
	v_add_f64 v[28:29], v[32:33], v[28:29]
	v_mul_f64 v[32:33], v[104:105], s[40:41]
	buffer_store_dword v32, off, s[60:63], 0 offset:516 ; 4-byte Folded Spill
	buffer_store_dword v33, off, s[60:63], 0 offset:520 ; 4-byte Folded Spill
	v_fma_f64 v[32:33], v[108:109], s[50:51], v[32:33]
	v_add_f64 v[30:31], v[32:33], v[30:31]
	v_mul_f64 v[32:33], v[100:101], s[44:45]
	buffer_store_dword v32, off, s[60:63], 0 offset:484 ; 4-byte Folded Spill
	buffer_store_dword v33, off, s[60:63], 0 offset:488 ; 4-byte Folded Spill
	v_fma_f64 v[32:33], v[102:103], s[30:31], -v[32:33]
	v_add_f64 v[28:29], v[32:33], v[28:29]
	v_mul_f64 v[32:33], v[6:7], s[30:31]
	buffer_store_dword v32, off, s[60:63], 0 offset:492 ; 4-byte Folded Spill
	buffer_store_dword v33, off, s[60:63], 0 offset:496 ; 4-byte Folded Spill
	s_waitcnt_vscnt null, 0x0
	s_barrier
	buffer_gl0_inv
	v_fma_f64 v[32:33], v[8:9], s[44:45], v[32:33]
	v_add_f64 v[30:31], v[32:33], v[30:31]
	v_fma_f64 v[32:33], v[112:113], s[34:35], -v[68:69]
	v_add_f64 v[28:29], v[32:33], v[28:29]
	v_fma_f64 v[32:33], v[14:15], s[48:49], v[70:71]
	v_add_f64 v[30:31], v[32:33], v[30:31]
	v_fma_f64 v[32:33], v[110:111], s[16:17], -v[64:65]
	v_add_f64 v[28:29], v[32:33], v[28:29]
	;; [unrolled: 4-line block ×3, first 2 shown]
	v_mul_f64 v[32:33], v[94:95], s[10:11]
	v_fma_f64 v[28:29], v[0:1], s[42:43], v[32:33]
	v_add_f64 v[182:183], v[28:29], v[30:31]
	s_and_saveexec_b32 s1, vcc_lo
	s_cbranch_execz .LBB0_17
; %bb.16:
	v_add_f64 v[28:29], v[194:195], v[250:251]
	v_add_f64 v[30:31], v[192:193], v[248:249]
	buffer_store_dword v32, off, s[60:63], 0 offset:572 ; 4-byte Folded Spill
	buffer_store_dword v33, off, s[60:63], 0 offset:576 ; 4-byte Folded Spill
	v_mov_b32_e32 v249, v37
	buffer_store_dword v40, off, s[60:63], 0 offset:628 ; 4-byte Folded Spill
	buffer_store_dword v41, off, s[60:63], 0 offset:632 ; 4-byte Folded Spill
	buffer_store_dword v42, off, s[60:63], 0 offset:564 ; 4-byte Folded Spill
	buffer_store_dword v43, off, s[60:63], 0 offset:568 ; 4-byte Folded Spill
	buffer_store_dword v44, off, s[60:63], 0 offset:668 ; 4-byte Folded Spill
	buffer_store_dword v45, off, s[60:63], 0 offset:672 ; 4-byte Folded Spill
	buffer_store_dword v48, off, s[60:63], 0 offset:580 ; 4-byte Folded Spill
	buffer_store_dword v49, off, s[60:63], 0 offset:584 ; 4-byte Folded Spill
	buffer_store_dword v52, off, s[60:63], 0 offset:620 ; 4-byte Folded Spill
	buffer_store_dword v53, off, s[60:63], 0 offset:624 ; 4-byte Folded Spill
	v_mul_f64 v[32:33], v[18:19], s[50:51]
	v_mov_b32_e32 v248, v36
	v_mul_f64 v[36:37], v[18:19], s[36:37]
	v_mul_f64 v[40:41], v[18:19], s[28:29]
	;; [unrolled: 1-line block ×5, first 2 shown]
	v_mov_b32_e32 v251, v47
	buffer_store_dword v54, off, s[60:63], 0 offset:588 ; 4-byte Folded Spill
	buffer_store_dword v55, off, s[60:63], 0 offset:592 ; 4-byte Folded Spill
	v_mov_b32_e32 v250, v46
	s_mov_b32 s53, 0x3fe58eea
	s_mov_b32 s52, s22
	;; [unrolled: 1-line block ×3, first 2 shown]
	v_add_f64 v[28:29], v[28:29], v[246:247]
	v_add_f64 v[30:31], v[30:31], v[244:245]
	v_mov_b32_e32 v245, v35
	v_mov_b32_e32 v247, v39
	;; [unrolled: 1-line block ×4, first 2 shown]
	s_mov_b32 s54, s18
	s_mov_b32 s57, 0x3fe9895b
	;; [unrolled: 1-line block ×3, first 2 shown]
	v_fma_f64 v[34:35], v[16:17], s[40:41], v[32:33]
	v_fma_f64 v[32:33], v[16:17], s[40:41], -v[32:33]
	v_fma_f64 v[38:39], v[16:17], s[30:31], v[36:37]
	v_fma_f64 v[36:37], v[16:17], s[30:31], -v[36:37]
	;; [unrolled: 2-line block ×4, first 2 shown]
	v_fma_f64 v[54:55], v[16:17], s[16:17], v[52:53]
	v_add_f64 v[28:29], v[28:29], v[242:243]
	v_mov_b32_e32 v243, v51
	v_mov_b32_e32 v242, v50
	v_fma_f64 v[50:51], v[16:17], s[20:21], v[48:49]
	v_fma_f64 v[48:49], v[16:17], s[20:21], -v[48:49]
	v_fma_f64 v[16:17], v[16:17], s[16:17], -v[52:53]
	v_mul_f64 v[52:53], v[18:19], s[22:23]
	v_add_f64 v[30:31], v[30:31], v[240:241]
	v_mul_f64 v[18:19], v[18:19], s[2:3]
	v_add_f64 v[34:35], v[194:195], v[34:35]
	v_add_f64 v[32:33], v[194:195], v[32:33]
	v_mul_f64 v[240:241], v[0:1], s[54:55]
	v_add_f64 v[38:39], v[194:195], v[38:39]
	v_add_f64 v[36:37], v[194:195], v[36:37]
	;; [unrolled: 1-line block ×9, first 2 shown]
	v_add_f64 v[22:23], v[22:23], -v[52:53]
	v_mul_f64 v[52:53], v[160:161], s[8:9]
	v_add_f64 v[30:31], v[30:31], v[220:221]
	v_add_f64 v[28:29], v[28:29], v[226:227]
	;; [unrolled: 1-line block ×4, first 2 shown]
	s_clause 0x1
	buffer_load_dword v52, off, s[60:63], 0 offset:556
	buffer_load_dword v53, off, s[60:63], 0 offset:560
	buffer_store_dword v56, off, s[60:63], 0 offset:660 ; 4-byte Folded Spill
	buffer_store_dword v57, off, s[60:63], 0 offset:664 ; 4-byte Folded Spill
	;; [unrolled: 1-line block ×16, first 2 shown]
	s_clause 0x1
	buffer_load_dword v220, off, s[60:63], 0 offset:548
	buffer_load_dword v221, off, s[60:63], 0 offset:552
	v_add_f64 v[30:31], v[30:31], v[224:225]
	v_mul_f64 v[62:63], v[162:163], s[18:19]
	v_add_f64 v[224:225], v[194:195], v[54:55]
	v_mul_f64 v[54:55], v[174:175], s[42:43]
	;; [unrolled: 2-line block ×3, first 2 shown]
	v_mul_f64 v[58:59], v[162:163], s[28:29]
	v_mul_f64 v[60:61], v[162:163], s[38:39]
	;; [unrolled: 1-line block ×3, first 2 shown]
	v_add_f64 v[30:31], v[30:31], v[228:229]
	v_add_f64 v[228:229], v[194:195], v[16:17]
	;; [unrolled: 1-line block ×4, first 2 shown]
	v_fma_f64 v[68:69], v[160:161], s[30:31], -v[56:57]
	v_fma_f64 v[56:57], v[160:161], s[30:31], v[56:57]
	v_fma_f64 v[70:71], v[160:161], s[26:27], -v[58:59]
	v_fma_f64 v[58:59], v[160:161], s[26:27], v[58:59]
	;; [unrolled: 2-line block ×3, first 2 shown]
	v_add_f64 v[30:31], v[30:31], v[208:209]
	v_fma_f64 v[208:209], v[160:161], s[20:21], -v[62:63]
	v_fma_f64 v[62:63], v[160:161], s[20:21], v[62:63]
	v_add_f64 v[28:29], v[28:29], v[238:239]
	v_add_f64 v[68:69], v[192:193], v[68:69]
	;; [unrolled: 1-line block ×6, first 2 shown]
	v_mul_f64 v[210:211], v[8:9], s[28:29]
	v_mul_f64 v[238:239], v[2:3], s[38:39]
	v_add_f64 v[30:31], v[30:31], v[236:237]
	v_mul_f64 v[236:237], v[10:11], s[38:39]
	v_add_f64 v[226:227], v[192:193], v[62:63]
	v_fma_f64 v[62:63], v[252:253], s[10:11], v[54:55]
	v_fma_f64 v[54:55], v[252:253], s[10:11], -v[54:55]
	v_add_f64 v[28:29], v[28:29], v[234:235]
	v_mul_f64 v[234:235], v[114:115], s[46:47]
	v_add_f64 v[30:31], v[30:31], v[232:233]
	v_add_f64 v[232:233], v[192:193], v[208:209]
	v_mul_f64 v[208:209], v[254:255], s[52:53]
	v_add_f64 v[34:35], v[62:63], v[34:35]
	v_mul_f64 v[62:63], v[170:171], s[42:43]
	v_add_f64 v[32:33], v[54:55], v[32:33]
	v_add_f64 v[28:29], v[28:29], v[218:219]
	v_mul_f64 v[218:219], v[14:15], s[46:47]
	v_add_f64 v[30:31], v[30:31], v[216:217]
	v_mul_f64 v[216:217], v[100:101], s[28:29]
	v_fma_f64 v[54:55], v[164:165], s[10:11], v[62:63]
	v_add_f64 v[28:29], v[28:29], v[214:215]
	v_mul_f64 v[214:215], v[10:11], s[52:53]
	v_add_f64 v[30:31], v[30:31], v[212:213]
	v_mul_f64 v[212:213], v[114:115], s[50:51]
	;; [unrolled: 2-line block ×4, first 2 shown]
	v_add_f64 v[200:201], v[30:31], v[200:201]
	s_waitcnt vmcnt(2)
	v_add_f64 v[18:19], v[52:53], -v[18:19]
	v_mul_f64 v[52:53], v[162:163], s[50:51]
	v_fma_f64 v[162:163], v[160:161], s[34:35], -v[60:61]
	v_fma_f64 v[60:61], v[160:161], s[34:35], v[60:61]
	v_add_f64 v[20:21], v[194:195], v[18:19]
	v_fma_f64 v[66:67], v[160:161], s[40:41], -v[52:53]
	v_fma_f64 v[52:53], v[160:161], s[40:41], v[52:53]
	v_mul_f64 v[160:161], v[160:161], s[10:11]
	v_add_f64 v[230:231], v[192:193], v[162:163]
	v_add_f64 v[60:61], v[192:193], v[60:61]
	v_add_f64 v[66:67], v[192:193], v[66:67]
	v_add_f64 v[52:53], v[192:193], v[52:53]
	s_waitcnt vmcnt(0)
	v_add_f64 v[160:161], v[160:161], v[220:221]
	v_add_f64 v[220:221], v[192:193], v[64:65]
	v_fma_f64 v[64:65], v[164:165], s[10:11], -v[62:63]
	v_add_f64 v[52:53], v[54:55], v[52:53]
	v_add_f64 v[18:19], v[192:193], v[160:161]
	;; [unrolled: 1-line block ×3, first 2 shown]
	v_mul_f64 v[66:67], v[96:97], s[36:37]
	v_fma_f64 v[160:161], v[98:99], s[30:31], v[66:67]
	v_fma_f64 v[54:55], v[98:99], s[30:31], -v[66:67]
	v_add_f64 v[34:35], v[160:161], v[34:35]
	v_mul_f64 v[160:161], v[166:167], s[36:37]
	v_add_f64 v[32:33], v[54:55], v[32:33]
	v_fma_f64 v[162:163], v[168:169], s[30:31], -v[160:161]
	v_fma_f64 v[54:55], v[168:169], s[30:31], v[160:161]
	v_add_f64 v[64:65], v[162:163], v[64:65]
	v_mul_f64 v[162:163], v[108:109], s[52:53]
	v_add_f64 v[52:53], v[54:55], v[52:53]
	v_fma_f64 v[192:193], v[104:105], s[8:9], v[162:163]
	v_fma_f64 v[54:55], v[104:105], s[8:9], -v[162:163]
	v_add_f64 v[34:35], v[192:193], v[34:35]
	v_fma_f64 v[192:193], v[172:173], s[8:9], -v[208:209]
	v_add_f64 v[32:33], v[54:55], v[32:33]
	v_fma_f64 v[54:55], v[172:173], s[8:9], v[208:209]
	v_add_f64 v[64:65], v[192:193], v[64:65]
	v_fma_f64 v[192:193], v[6:7], s[26:27], v[210:211]
	v_add_f64 v[52:53], v[54:55], v[52:53]
	v_fma_f64 v[54:55], v[6:7], s[26:27], -v[210:211]
	v_add_f64 v[34:35], v[192:193], v[34:35]
	v_fma_f64 v[192:193], v[102:103], s[26:27], -v[216:217]
	v_add_f64 v[32:33], v[54:55], v[32:33]
	v_fma_f64 v[54:55], v[102:103], s[26:27], v[216:217]
	v_mul_f64 v[216:217], v[2:3], s[52:53]
	v_add_f64 v[64:65], v[192:193], v[64:65]
	v_fma_f64 v[192:193], v[12:13], s[16:17], v[218:219]
	v_add_f64 v[52:53], v[54:55], v[52:53]
	v_fma_f64 v[54:55], v[12:13], s[16:17], -v[218:219]
	v_mul_f64 v[218:219], v[0:1], s[38:39]
	v_add_f64 v[34:35], v[192:193], v[34:35]
	v_fma_f64 v[192:193], v[112:113], s[16:17], -v[234:235]
	v_add_f64 v[32:33], v[54:55], v[32:33]
	v_fma_f64 v[54:55], v[112:113], s[16:17], v[234:235]
	v_add_f64 v[64:65], v[192:193], v[64:65]
	v_fma_f64 v[192:193], v[4:5], s[34:35], v[236:237]
	v_add_f64 v[52:53], v[54:55], v[52:53]
	v_fma_f64 v[54:55], v[4:5], s[34:35], -v[236:237]
	v_add_f64 v[34:35], v[192:193], v[34:35]
	v_fma_f64 v[192:193], v[110:111], s[34:35], -v[238:239]
	v_add_f64 v[32:33], v[54:55], v[32:33]
	v_fma_f64 v[54:55], v[110:111], s[34:35], v[238:239]
	v_add_f64 v[64:65], v[192:193], v[64:65]
	v_fma_f64 v[192:193], v[94:95], s[20:21], v[240:241]
	v_add_f64 v[52:53], v[54:55], v[52:53]
	v_fma_f64 v[54:55], v[94:95], s[20:21], -v[240:241]
	v_add_f64 v[194:195], v[192:193], v[34:35]
	v_mul_f64 v[34:35], v[106:107], s[54:55]
	v_add_f64 v[210:211], v[54:55], v[32:33]
	v_mul_f64 v[32:33], v[174:175], s[46:47]
	v_mul_f64 v[54:55], v[96:97], s[18:19]
	v_fma_f64 v[192:193], v[92:93], s[20:21], -v[34:35]
	v_fma_f64 v[34:35], v[92:93], s[20:21], v[34:35]
	v_fma_f64 v[62:63], v[98:99], s[20:21], v[54:55]
	v_add_f64 v[192:193], v[192:193], v[64:65]
	v_add_f64 v[208:209], v[34:35], v[52:53]
	v_fma_f64 v[34:35], v[252:253], s[16:17], v[32:33]
	v_add_f64 v[34:35], v[34:35], v[38:39]
	v_mul_f64 v[38:39], v[170:171], s[46:47]
	v_add_f64 v[34:35], v[62:63], v[34:35]
	v_fma_f64 v[52:53], v[164:165], s[16:17], -v[38:39]
	v_mul_f64 v[62:63], v[166:167], s[18:19]
	v_fma_f64 v[30:31], v[164:165], s[16:17], v[38:39]
	v_add_f64 v[38:39], v[200:201], v[188:189]
	v_add_f64 v[52:53], v[52:53], v[68:69]
	v_fma_f64 v[64:65], v[168:169], s[20:21], -v[62:63]
	v_add_f64 v[30:31], v[30:31], v[56:57]
	v_add_f64 v[196:197], v[38:39], v[196:197]
	;; [unrolled: 1-line block ×3, first 2 shown]
	v_mul_f64 v[64:65], v[108:109], s[56:57]
	v_fma_f64 v[66:67], v[104:105], s[26:27], v[64:65]
	v_add_f64 v[34:35], v[66:67], v[34:35]
	v_mul_f64 v[66:67], v[254:255], s[56:57]
	v_fma_f64 v[68:69], v[172:173], s[26:27], -v[66:67]
	v_add_f64 v[52:53], v[68:69], v[52:53]
	v_mul_f64 v[68:69], v[8:9], s[2:3]
	v_fma_f64 v[160:161], v[6:7], s[10:11], v[68:69]
	v_add_f64 v[34:35], v[160:161], v[34:35]
	v_fma_f64 v[160:161], v[102:103], s[10:11], -v[204:205]
	v_add_f64 v[52:53], v[160:161], v[52:53]
	v_fma_f64 v[160:161], v[12:13], s[40:41], v[206:207]
	v_add_f64 v[34:35], v[160:161], v[34:35]
	v_fma_f64 v[160:161], v[112:113], s[40:41], -v[212:213]
	v_add_f64 v[52:53], v[160:161], v[52:53]
	;; [unrolled: 4-line block ×3, first 2 shown]
	v_fma_f64 v[160:161], v[94:95], s[34:35], v[218:219]
	v_add_f64 v[162:163], v[160:161], v[34:35]
	v_mul_f64 v[34:35], v[106:107], s[38:39]
	v_fma_f64 v[160:161], v[92:93], s[34:35], -v[34:35]
	v_fma_f64 v[34:35], v[92:93], s[34:35], v[34:35]
	v_add_f64 v[160:161], v[160:161], v[52:53]
	v_add_f64 v[52:53], v[28:29], v[202:203]
	v_fma_f64 v[28:29], v[252:253], s[16:17], -v[32:33]
	v_fma_f64 v[32:33], v[98:99], s[20:21], -v[54:55]
	v_mul_f64 v[54:55], v[96:97], s[2:3]
	v_add_f64 v[28:29], v[28:29], v[36:37]
	v_add_f64 v[36:37], v[52:53], v[190:191]
	v_mul_f64 v[52:53], v[174:175], s[48:49]
	v_fma_f64 v[56:57], v[98:99], s[10:11], v[54:55]
	v_add_f64 v[28:29], v[32:33], v[28:29]
	v_fma_f64 v[32:33], v[168:169], s[20:21], v[62:63]
	v_fma_f64 v[38:39], v[252:253], s[34:35], -v[52:53]
	v_add_f64 v[36:37], v[36:37], v[198:199]
	v_add_f64 v[30:31], v[32:33], v[30:31]
	v_fma_f64 v[32:33], v[104:105], s[26:27], -v[64:65]
	v_add_f64 v[38:39], v[38:39], v[40:41]
	v_add_f64 v[28:29], v[32:33], v[28:29]
	v_fma_f64 v[32:33], v[172:173], s[26:27], v[66:67]
	v_add_f64 v[30:31], v[32:33], v[30:31]
	v_fma_f64 v[32:33], v[6:7], s[10:11], -v[68:69]
	v_add_f64 v[28:29], v[32:33], v[28:29]
	v_fma_f64 v[32:33], v[102:103], s[10:11], v[204:205]
	v_mul_f64 v[204:205], v[0:1], s[46:47]
	v_add_f64 v[30:31], v[32:33], v[30:31]
	v_fma_f64 v[32:33], v[12:13], s[40:41], -v[206:207]
	v_mul_f64 v[206:207], v[106:107], s[46:47]
	v_add_f64 v[28:29], v[32:33], v[28:29]
	v_fma_f64 v[32:33], v[112:113], s[40:41], v[212:213]
	v_add_f64 v[30:31], v[32:33], v[30:31]
	v_fma_f64 v[32:33], v[4:5], s[8:9], -v[214:215]
	v_add_f64 v[28:29], v[32:33], v[28:29]
	v_fma_f64 v[32:33], v[110:111], s[8:9], v[216:217]
	v_add_f64 v[32:33], v[32:33], v[30:31]
	v_fma_f64 v[30:31], v[94:95], s[34:35], -v[218:219]
	v_add_f64 v[30:31], v[30:31], v[28:29]
	v_add_f64 v[28:29], v[34:35], v[32:33]
	v_fma_f64 v[32:33], v[252:253], s[34:35], v[52:53]
	v_add_f64 v[32:33], v[32:33], v[42:43]
	v_mul_f64 v[42:43], v[170:171], s[48:49]
	v_add_f64 v[32:33], v[56:57], v[32:33]
	v_fma_f64 v[34:35], v[164:165], s[34:35], -v[42:43]
	v_mul_f64 v[56:57], v[166:167], s[2:3]
	v_fma_f64 v[40:41], v[164:165], s[34:35], v[42:43]
	v_mul_f64 v[42:43], v[174:175], s[44:45]
	v_add_f64 v[34:35], v[34:35], v[70:71]
	v_fma_f64 v[62:63], v[168:169], s[10:11], -v[56:57]
	v_add_f64 v[40:41], v[40:41], v[58:59]
	v_fma_f64 v[52:53], v[252:253], s[30:31], v[42:43]
	v_fma_f64 v[42:43], v[252:253], s[30:31], -v[42:43]
	v_add_f64 v[34:35], v[62:63], v[34:35]
	v_mul_f64 v[62:63], v[108:109], s[36:37]
	v_add_f64 v[46:47], v[52:53], v[46:47]
	v_fma_f64 v[52:53], v[98:99], s[10:11], -v[54:55]
	v_add_f64 v[42:43], v[42:43], v[44:45]
	v_mul_f64 v[44:45], v[170:171], s[44:45]
	v_fma_f64 v[64:65], v[104:105], s[30:31], v[62:63]
	v_add_f64 v[38:39], v[52:53], v[38:39]
	v_fma_f64 v[52:53], v[168:169], s[10:11], v[56:57]
	v_add_f64 v[32:33], v[64:65], v[32:33]
	v_mul_f64 v[64:65], v[254:255], s[36:37]
	v_add_f64 v[40:41], v[52:53], v[40:41]
	v_fma_f64 v[52:53], v[104:105], s[30:31], -v[62:63]
	v_fma_f64 v[66:67], v[172:173], s[30:31], -v[64:65]
	v_add_f64 v[38:39], v[52:53], v[38:39]
	v_add_f64 v[34:35], v[66:67], v[34:35]
	v_mul_f64 v[66:67], v[8:9], s[54:55]
	v_fma_f64 v[68:69], v[6:7], s[20:21], v[66:67]
	v_fma_f64 v[52:53], v[6:7], s[20:21], -v[66:67]
	v_add_f64 v[32:33], v[68:69], v[32:33]
	v_mul_f64 v[68:69], v[100:101], s[54:55]
	v_add_f64 v[38:39], v[52:53], v[38:39]
	v_fma_f64 v[70:71], v[102:103], s[20:21], -v[68:69]
	v_add_f64 v[34:35], v[70:71], v[34:35]
	v_mul_f64 v[70:71], v[14:15], s[22:23]
	v_fma_f64 v[52:53], v[12:13], s[8:9], -v[70:71]
	v_fma_f64 v[188:189], v[12:13], s[8:9], v[70:71]
	v_add_f64 v[38:39], v[52:53], v[38:39]
	v_mul_f64 v[52:53], v[96:97], s[52:53]
	v_add_f64 v[32:33], v[188:189], v[32:33]
	v_mul_f64 v[188:189], v[114:115], s[22:23]
	v_fma_f64 v[54:55], v[98:99], s[8:9], v[52:53]
	v_fma_f64 v[52:53], v[98:99], s[8:9], -v[52:53]
	v_fma_f64 v[190:191], v[112:113], s[8:9], -v[188:189]
	v_add_f64 v[46:47], v[54:55], v[46:47]
	v_add_f64 v[42:43], v[52:53], v[42:43]
	v_fma_f64 v[52:53], v[172:173], s[30:31], v[64:65]
	v_fma_f64 v[54:55], v[164:165], s[30:31], -v[44:45]
	v_fma_f64 v[44:45], v[164:165], s[30:31], v[44:45]
	v_add_f64 v[34:35], v[190:191], v[34:35]
	v_mul_f64 v[190:191], v[10:11], s[50:51]
	v_add_f64 v[40:41], v[52:53], v[40:41]
	v_mul_f64 v[52:53], v[174:175], s[50:51]
	v_add_f64 v[44:45], v[44:45], v[60:61]
	v_add_f64 v[54:55], v[54:55], v[230:231]
	v_fma_f64 v[200:201], v[4:5], s[40:41], v[190:191]
	v_fma_f64 v[56:57], v[252:253], s[40:41], v[52:53]
	v_fma_f64 v[52:53], v[252:253], s[40:41], -v[52:53]
	v_add_f64 v[32:33], v[200:201], v[32:33]
	v_mul_f64 v[200:201], v[2:3], s[50:51]
	v_add_f64 v[50:51], v[56:57], v[50:51]
	v_add_f64 v[48:49], v[52:53], v[48:49]
	v_mul_f64 v[52:53], v[166:167], s[52:53]
	v_mul_f64 v[56:57], v[108:109], s[24:25]
	v_fma_f64 v[202:203], v[110:111], s[40:41], -v[200:201]
	v_fma_f64 v[62:63], v[168:169], s[8:9], -v[52:53]
	v_fma_f64 v[52:53], v[168:169], s[8:9], v[52:53]
	v_fma_f64 v[58:59], v[104:105], s[16:17], v[56:57]
	v_fma_f64 v[56:57], v[104:105], s[16:17], -v[56:57]
	v_add_f64 v[202:203], v[202:203], v[34:35]
	v_fma_f64 v[34:35], v[94:95], s[16:17], v[204:205]
	v_add_f64 v[54:55], v[62:63], v[54:55]
	v_add_f64 v[44:45], v[52:53], v[44:45]
	v_mul_f64 v[52:53], v[96:97], s[48:49]
	v_add_f64 v[42:43], v[56:57], v[42:43]
	v_add_f64 v[46:47], v[58:59], v[46:47]
	v_mul_f64 v[58:59], v[170:171], s[50:51]
	v_add_f64 v[34:35], v[34:35], v[32:33]
	v_fma_f64 v[32:33], v[92:93], s[16:17], -v[206:207]
	v_mul_f64 v[170:171], v[170:171], s[28:29]
	v_fma_f64 v[56:57], v[98:99], s[34:35], v[52:53]
	v_fma_f64 v[52:53], v[98:99], s[34:35], -v[52:53]
	v_fma_f64 v[60:61], v[164:165], s[40:41], -v[58:59]
	v_add_f64 v[32:33], v[32:33], v[202:203]
	v_add_f64 v[50:51], v[56:57], v[50:51]
	v_fma_f64 v[56:57], v[4:5], s[40:41], -v[190:191]
	v_add_f64 v[48:49], v[52:53], v[48:49]
	v_add_f64 v[60:61], v[60:61], v[232:233]
	v_mul_f64 v[52:53], v[8:9], s[50:51]
	v_mul_f64 v[190:191], v[0:1], s[50:51]
	v_add_f64 v[38:39], v[56:57], v[38:39]
	v_fma_f64 v[56:57], v[102:103], s[20:21], v[68:69]
	v_add_f64 v[40:41], v[56:57], v[40:41]
	v_mul_f64 v[56:57], v[166:167], s[48:49]
	v_fma_f64 v[62:63], v[168:169], s[34:35], -v[56:57]
	v_fma_f64 v[56:57], v[168:169], s[34:35], v[56:57]
	v_add_f64 v[60:61], v[62:63], v[60:61]
	v_fma_f64 v[62:63], v[6:7], s[40:41], v[52:53]
	v_fma_f64 v[52:53], v[6:7], s[40:41], -v[52:53]
	v_add_f64 v[46:47], v[62:63], v[46:47]
	v_mul_f64 v[62:63], v[254:255], s[24:25]
	v_add_f64 v[42:43], v[52:53], v[42:43]
	v_fma_f64 v[52:53], v[172:173], s[16:17], v[62:63]
	v_fma_f64 v[64:65], v[172:173], s[16:17], -v[62:63]
	v_add_f64 v[44:45], v[52:53], v[44:45]
	v_mul_f64 v[52:53], v[108:109], s[42:43]
	v_add_f64 v[54:55], v[64:65], v[54:55]
	v_fma_f64 v[62:63], v[104:105], s[10:11], v[52:53]
	v_fma_f64 v[52:53], v[104:105], s[10:11], -v[52:53]
	v_add_f64 v[50:51], v[62:63], v[50:51]
	v_fma_f64 v[62:63], v[112:113], s[8:9], v[188:189]
	v_add_f64 v[48:49], v[52:53], v[48:49]
	v_mul_f64 v[52:53], v[14:15], s[54:55]
	v_add_f64 v[40:41], v[62:63], v[40:41]
	v_mul_f64 v[62:63], v[254:255], s[42:43]
	v_fma_f64 v[64:65], v[172:173], s[10:11], -v[62:63]
	v_fma_f64 v[62:63], v[172:173], s[10:11], v[62:63]
	v_add_f64 v[60:61], v[64:65], v[60:61]
	v_fma_f64 v[64:65], v[12:13], s[20:21], v[52:53]
	v_fma_f64 v[52:53], v[12:13], s[20:21], -v[52:53]
	v_add_f64 v[46:47], v[64:65], v[46:47]
	v_mul_f64 v[64:65], v[100:101], s[50:51]
	v_add_f64 v[42:43], v[52:53], v[42:43]
	v_fma_f64 v[52:53], v[102:103], s[40:41], v[64:65]
	v_fma_f64 v[66:67], v[102:103], s[40:41], -v[64:65]
	v_add_f64 v[44:45], v[52:53], v[44:45]
	v_mul_f64 v[52:53], v[8:9], s[24:25]
	;; [unrolled: 5-line block ×3, first 2 shown]
	v_add_f64 v[48:49], v[52:53], v[48:49]
	v_fma_f64 v[52:53], v[110:111], s[40:41], v[200:201]
	v_fma_f64 v[66:67], v[102:103], s[16:17], -v[64:65]
	v_fma_f64 v[64:65], v[102:103], s[16:17], v[64:65]
	v_add_f64 v[40:41], v[52:53], v[40:41]
	v_mul_f64 v[52:53], v[10:11], s[2:3]
	v_add_f64 v[60:61], v[66:67], v[60:61]
	v_fma_f64 v[66:67], v[4:5], s[10:11], v[52:53]
	v_fma_f64 v[52:53], v[4:5], s[10:11], -v[52:53]
	v_add_f64 v[46:47], v[66:67], v[46:47]
	v_mul_f64 v[66:67], v[114:115], s[54:55]
	v_add_f64 v[42:43], v[52:53], v[42:43]
	v_fma_f64 v[68:69], v[112:113], s[20:21], -v[66:67]
	v_fma_f64 v[52:53], v[112:113], s[20:21], v[66:67]
	v_add_f64 v[54:55], v[68:69], v[54:55]
	v_mul_f64 v[68:69], v[174:175], s[28:29]
	v_add_f64 v[44:45], v[52:53], v[44:45]
	v_mul_f64 v[52:53], v[14:15], s[36:37]
	v_fma_f64 v[70:71], v[252:253], s[26:27], -v[68:69]
	v_fma_f64 v[68:69], v[252:253], s[26:27], v[68:69]
	v_fma_f64 v[66:67], v[12:13], s[30:31], v[52:53]
	v_fma_f64 v[52:53], v[12:13], s[30:31], -v[52:53]
	v_add_f64 v[68:69], v[68:69], v[224:225]
	v_add_f64 v[50:51], v[66:67], v[50:51]
	;; [unrolled: 1-line block ×3, first 2 shown]
	v_mul_f64 v[70:71], v[114:115], s[36:37]
	v_add_f64 v[48:49], v[52:53], v[48:49]
	v_fma_f64 v[52:53], v[164:165], s[40:41], v[58:59]
	v_mul_f64 v[58:59], v[174:175], s[18:19]
	v_mul_f64 v[174:175], v[174:175], s[22:23]
	v_fma_f64 v[188:189], v[112:113], s[30:31], -v[70:71]
	v_add_f64 v[52:53], v[52:53], v[226:227]
	v_add_f64 v[174:175], v[246:247], -v[174:175]
	v_add_f64 v[60:61], v[188:189], v[60:61]
	s_clause 0x5
	buffer_load_dword v188, off, s[60:63], 0 offset:540
	buffer_load_dword v189, off, s[60:63], 0 offset:544
	;; [unrolled: 1-line block ×6, first 2 shown]
	v_add_f64 v[20:21], v[174:175], v[20:21]
	v_add_f64 v[52:53], v[56:57], v[52:53]
	v_mul_f64 v[56:57], v[108:109], s[48:49]
	v_add_f64 v[52:53], v[62:63], v[52:53]
	v_add_f64 v[52:53], v[64:65], v[52:53]
	s_waitcnt vmcnt(4)
	v_add_f64 v[58:59], v[188:189], -v[58:59]
	v_mul_f64 v[188:189], v[108:109], s[50:51]
	s_mov_b32 s51, 0x3fc7851a
	v_mul_f64 v[198:199], v[96:97], s[50:51]
	v_mul_f64 v[166:167], v[166:167], s[50:51]
	v_add_f64 v[22:23], v[58:59], v[22:23]
	v_mul_f64 v[58:59], v[168:169], s[26:27]
	v_fma_f64 v[200:201], v[98:99], s[40:41], -v[198:199]
	v_fma_f64 v[98:99], v[98:99], s[40:41], v[198:199]
	v_fma_f64 v[198:199], v[164:165], s[26:27], -v[170:171]
	v_fma_f64 v[170:171], v[164:165], s[26:27], v[170:171]
	;; [unrolled: 2-line block ×3, first 2 shown]
	v_mul_f64 v[168:169], v[168:169], s[16:17]
	v_add_f64 v[66:67], v[200:201], v[66:67]
	v_mul_f64 v[200:201], v[164:165], s[8:9]
	v_mul_f64 v[164:165], v[164:165], s[20:21]
	v_add_f64 v[198:199], v[198:199], v[222:223]
	v_add_f64 v[170:171], v[170:171], v[220:221]
	;; [unrolled: 1-line block ×4, first 2 shown]
	v_mul_f64 v[98:99], v[254:255], s[48:49]
	v_add_f64 v[200:201], v[200:201], v[244:245]
	s_waitcnt vmcnt(2)
	v_add_f64 v[164:165], v[164:165], v[202:203]
	v_mul_f64 v[202:203], v[96:97], s[28:29]
	v_mul_f64 v[96:97], v[96:97], s[24:25]
	v_add_f64 v[18:19], v[200:201], v[18:19]
	v_add_f64 v[16:17], v[164:165], v[16:17]
	s_waitcnt vmcnt(0)
	v_add_f64 v[202:203], v[212:213], -v[202:203]
	s_clause 0x5
	buffer_load_dword v212, off, s[60:63], 0 offset:524
	buffer_load_dword v213, off, s[60:63], 0 offset:528
	;; [unrolled: 1-line block ×6, first 2 shown]
	v_add_f64 v[96:97], v[242:243], -v[96:97]
	v_add_f64 v[18:19], v[168:169], v[18:19]
	v_add_f64 v[22:23], v[202:203], v[22:23]
	s_clause 0x3
	buffer_load_dword v202, off, s[60:63], 0 offset:668
	buffer_load_dword v203, off, s[60:63], 0 offset:672
	;; [unrolled: 1-line block ×4, first 2 shown]
	v_add_f64 v[20:21], v[96:97], v[20:21]
	v_mul_f64 v[96:97], v[172:173], s[20:21]
	s_waitcnt vmcnt(8)
	v_add_f64 v[58:59], v[58:59], v[212:213]
	s_waitcnt vmcnt(6)
	v_add_f64 v[164:165], v[164:165], -v[188:189]
	v_mul_f64 v[188:189], v[172:173], s[40:41]
	s_waitcnt vmcnt(2)
	v_add_f64 v[96:97], v[96:97], v[202:203]
	v_add_f64 v[16:17], v[58:59], v[16:17]
	v_add_f64 v[188:189], v[188:189], v[200:201]
	v_mul_f64 v[200:201], v[108:109], s[18:19]
	v_fma_f64 v[108:109], v[104:105], s[34:35], -v[56:57]
	v_add_f64 v[58:59], v[166:167], v[170:171]
	v_fma_f64 v[56:57], v[104:105], s[34:35], v[56:57]
	v_fma_f64 v[104:105], v[172:173], s[34:35], v[98:99]
	v_fma_f64 v[98:99], v[172:173], s[34:35], -v[98:99]
	v_add_f64 v[166:167], v[174:175], v[198:199]
	v_add_f64 v[22:23], v[164:165], v[22:23]
	v_mul_f64 v[164:165], v[102:103], s[30:31]
	v_add_f64 v[18:19], v[96:97], v[18:19]
	v_add_f64 v[16:17], v[188:189], v[16:17]
	v_add_f64 v[200:201], v[250:251], -v[200:201]
	v_add_f64 v[66:67], v[108:109], v[66:67]
	v_mul_f64 v[108:109], v[8:9], s[44:45]
	v_add_f64 v[58:59], v[104:105], v[58:59]
	v_add_f64 v[96:97], v[98:99], v[166:167]
	;; [unrolled: 1-line block ×3, first 2 shown]
	s_waitcnt vmcnt(0)
	v_add_f64 v[108:109], v[168:169], -v[108:109]
	s_clause 0x7
	buffer_load_dword v168, off, s[60:63], 0 offset:484
	buffer_load_dword v169, off, s[60:63], 0 offset:488
	;; [unrolled: 1-line block ×8, first 2 shown]
	v_add_f64 v[22:23], v[108:109], v[22:23]
	v_mul_f64 v[108:109], v[0:1], s[52:53]
	s_waitcnt vmcnt(6)
	v_add_f64 v[164:165], v[164:165], v[168:169]
	v_mul_f64 v[168:169], v[8:9], s[38:39]
	v_mul_f64 v[8:9], v[8:9], s[52:53]
	v_add_f64 v[16:17], v[164:165], v[16:17]
	s_waitcnt vmcnt(4)
	v_add_f64 v[168:169], v[170:171], -v[168:169]
	v_fma_f64 v[62:63], v[6:7], s[8:9], -v[8:9]
	v_fma_f64 v[6:7], v[6:7], s[8:9], v[8:9]
	v_add_f64 v[8:9], v[56:57], v[68:69]
	v_mul_f64 v[56:57], v[100:101], s[52:53]
	s_clause 0x1
	buffer_load_dword v100, off, s[60:63], 0 offset:644
	buffer_load_dword v101, off, s[60:63], 0 offset:648
	v_mul_f64 v[170:171], v[102:103], s[34:35]
	v_add_f64 v[20:21], v[168:169], v[20:21]
	v_add_f64 v[62:63], v[62:63], v[66:67]
	v_mul_f64 v[66:67], v[14:15], s[48:49]
	v_add_f64 v[6:7], v[6:7], v[8:9]
	v_fma_f64 v[68:69], v[102:103], s[8:9], v[56:57]
	v_fma_f64 v[56:57], v[102:103], s[8:9], -v[56:57]
	s_clause 0x3
	buffer_load_dword v102, off, s[60:63], 0 offset:636
	buffer_load_dword v103, off, s[60:63], 0 offset:640
	buffer_load_dword v104, off, s[60:63], 0 offset:620
	buffer_load_dword v105, off, s[60:63], 0 offset:624
	v_mul_f64 v[8:9], v[114:115], s[2:3]
	s_waitcnt vmcnt(8)
	v_add_f64 v[170:171], v[170:171], v[172:173]
	s_waitcnt vmcnt(6)
	v_add_f64 v[66:67], v[98:99], -v[66:67]
	v_mul_f64 v[98:99], v[112:113], s[34:35]
	v_add_f64 v[58:59], v[68:69], v[58:59]
	v_add_f64 v[56:57], v[56:57], v[96:97]
	v_fma_f64 v[68:69], v[112:113], s[10:11], v[8:9]
	v_add_f64 v[18:19], v[170:171], v[18:19]
	v_fma_f64 v[8:9], v[112:113], s[10:11], -v[8:9]
	v_add_f64 v[22:23], v[66:67], v[22:23]
	v_mul_f64 v[66:67], v[110:111], s[16:17]
	v_add_f64 v[58:59], v[68:69], v[58:59]
	v_mul_f64 v[68:69], v[2:3], s[2:3]
	;; [unrolled: 2-line block ×3, first 2 shown]
	s_waitcnt vmcnt(4)
	v_add_f64 v[98:99], v[98:99], v[100:101]
	v_mul_f64 v[100:101], v[14:15], s[28:29]
	v_mul_f64 v[14:15], v[14:15], s[2:3]
	v_add_f64 v[16:17], v[98:99], v[16:17]
	s_waitcnt vmcnt(2)
	v_add_f64 v[100:101], v[102:103], -v[100:101]
	v_fma_f64 v[64:65], v[12:13], s[10:11], -v[14:15]
	v_fma_f64 v[12:13], v[12:13], s[10:11], v[14:15]
	v_fma_f64 v[14:15], v[112:113], s[30:31], v[70:71]
	s_clause 0x1
	buffer_load_dword v70, off, s[60:63], 0 offset:612
	buffer_load_dword v71, off, s[60:63], 0 offset:616
	v_mul_f64 v[102:103], v[112:113], s[26:27]
	v_mul_f64 v[112:113], v[106:107], s[52:53]
	v_add_f64 v[20:21], v[100:101], v[20:21]
	v_add_f64 v[62:63], v[64:65], v[62:63]
	v_mul_f64 v[64:65], v[10:11], s[46:47]
	v_add_f64 v[14:15], v[14:15], v[52:53]
	v_mul_f64 v[52:53], v[2:3], s[56:57]
	s_waitcnt vmcnt(2)
	v_add_f64 v[102:103], v[102:103], v[104:105]
	v_mul_f64 v[2:3], v[2:3], s[18:19]
	v_add_f64 v[6:7], v[12:13], v[6:7]
	v_fma_f64 v[12:13], v[110:111], s[10:11], v[68:69]
	v_add_f64 v[18:19], v[102:103], v[18:19]
	v_fma_f64 v[102:103], v[110:111], s[20:21], v[2:3]
	v_fma_f64 v[2:3], v[110:111], s[20:21], -v[2:3]
	v_add_f64 v[44:45], v[12:13], v[44:45]
	v_add_f64 v[58:59], v[102:103], v[58:59]
	v_fma_f64 v[102:103], v[92:93], s[8:9], v[112:113]
	v_fma_f64 v[112:113], v[92:93], s[8:9], -v[112:113]
	s_waitcnt vmcnt(0)
	v_add_f64 v[64:65], v[70:71], -v[64:65]
	s_clause 0x7
	buffer_load_dword v70, off, s[60:63], 0 offset:604
	buffer_load_dword v71, off, s[60:63], 0 offset:608
	;; [unrolled: 1-line block ×8, first 2 shown]
	v_add_f64 v[22:23], v[64:65], v[22:23]
	s_clause 0x1
	buffer_load_dword v64, off, s[60:63], 0 offset:556
	buffer_load_dword v65, off, s[60:63], 0 offset:560
	s_waitcnt vmcnt(8)
	v_add_f64 v[66:67], v[66:67], v[70:71]
	v_mul_f64 v[70:71], v[10:11], s[36:37]
	s_waitcnt vmcnt(2)
	v_add_f64 v[56:57], v[104:105], -v[56:57]
	v_mul_f64 v[104:105], v[92:93], s[40:41]
	v_add_f64 v[16:17], v[66:67], v[16:17]
	v_add_f64 v[70:71], v[96:97], -v[70:71]
	v_mul_f64 v[96:97], v[110:111], s[30:31]
	v_add_f64 v[20:21], v[70:71], v[20:21]
	v_add_f64 v[96:97], v[96:97], v[100:101]
	v_mul_f64 v[100:101], v[10:11], s[56:57]
	v_mul_f64 v[10:11], v[10:11], s[18:19]
	;; [unrolled: 1-line block ×4, first 2 shown]
	v_add_f64 v[96:97], v[96:97], v[18:19]
	v_fma_f64 v[98:99], v[4:5], s[26:27], -v[100:101]
	v_fma_f64 v[100:101], v[4:5], s[26:27], v[100:101]
	v_fma_f64 v[18:19], v[94:95], s[16:17], -v[204:205]
	v_fma_f64 v[12:13], v[92:93], s[30:31], v[70:71]
	v_fma_f64 v[70:71], v[92:93], s[30:31], -v[70:71]
	v_add_f64 v[48:49], v[98:99], v[48:49]
	v_fma_f64 v[98:99], v[4:5], s[20:21], -v[10:11]
	v_fma_f64 v[4:5], v[4:5], s[20:21], v[10:11]
	v_fma_f64 v[10:11], v[110:111], s[10:11], -v[68:69]
	v_fma_f64 v[68:69], v[110:111], s[26:27], -v[52:53]
	v_fma_f64 v[52:53], v[110:111], s[26:27], v[52:53]
	s_clause 0x3
	buffer_load_dword v110, off, s[60:63], 0 offset:580
	buffer_load_dword v111, off, s[60:63], 0 offset:584
	;; [unrolled: 1-line block ×4, first 2 shown]
	v_add_f64 v[50:51], v[100:101], v[50:51]
	v_fma_f64 v[100:101], v[92:93], s[16:17], v[206:207]
	v_add_f64 v[12:13], v[12:13], v[58:59]
	v_add_f64 v[62:63], v[98:99], v[62:63]
	v_mul_f64 v[98:99], v[92:93], s[10:11]
	v_add_f64 v[54:55], v[10:11], v[54:55]
	v_add_f64 v[60:61], v[68:69], v[60:61]
	;; [unrolled: 1-line block ×3, first 2 shown]
	v_fma_f64 v[68:69], v[92:93], s[26:27], v[106:107]
	v_fma_f64 v[106:107], v[92:93], s[26:27], -v[106:107]
	v_add_f64 v[166:167], v[4:5], v[6:7]
	v_add_f64 v[92:93], v[2:3], v[8:9]
	;; [unrolled: 1-line block ×6, first 2 shown]
	s_waitcnt vmcnt(4)
	v_add_f64 v[64:65], v[98:99], v[64:65]
	v_mul_f64 v[98:99], v[0:1], s[28:29]
	v_mul_f64 v[0:1], v[0:1], s[36:37]
	v_add_f64 v[8:9], v[102:103], v[52:53]
	v_add_f64 v[4:5], v[68:69], v[44:45]
	v_mov_b32_e32 v53, 4
	v_add_f64 v[44:45], v[112:113], v[60:61]
	v_add_f64 v[16:17], v[64:65], v[16:17]
	v_fma_f64 v[66:67], v[94:95], s[26:27], -v[98:99]
	v_fma_f64 v[164:165], v[94:95], s[30:31], -v[0:1]
	v_fma_f64 v[98:99], v[94:95], s[26:27], v[98:99]
	v_add_f64 v[6:7], v[66:67], v[42:43]
	v_add_f64 v[14:15], v[164:165], v[62:63]
	;; [unrolled: 1-line block ×3, first 2 shown]
	s_waitcnt vmcnt(2)
	v_add_f64 v[110:111], v[110:111], -v[190:191]
	s_waitcnt vmcnt(0)
	v_add_f64 v[104:105], v[104:105], v[114:115]
	v_fma_f64 v[114:115], v[94:95], s[8:9], -v[108:109]
	v_fma_f64 v[108:109], v[94:95], s[8:9], v[108:109]
	v_fma_f64 v[94:95], v[94:95], s[30:31], v[0:1]
	v_add_f64 v[0:1], v[100:101], v[40:41]
	v_add_f64 v[40:41], v[106:107], v[54:55]
	;; [unrolled: 1-line block ×5, first 2 shown]
	buffer_load_dword v48, off, s[60:63], 0 offset:8 ; 4-byte Folded Reload
	v_add_f64 v[46:47], v[108:109], v[50:51]
	v_add_f64 v[50:51], v[94:95], v[166:167]
	s_waitcnt vmcnt(0)
	v_mul_lo_u16 v52, v48, 17
	v_add_f64 v[48:49], v[70:71], v[92:93]
	v_lshlrev_b32_sdwa v52, v53, v52 dst_sel:DWORD dst_unused:UNUSED_PAD src0_sel:DWORD src1_sel:WORD_0
	ds_write_b128 v52, v[36:39]
	ds_write_b128 v52, v[20:23] offset:16
	ds_write_b128 v52, v[16:19] offset:32
	;; [unrolled: 1-line block ×16, first 2 shown]
.LBB0_17:
	s_or_b32 exec_lo, exec_lo, s1
	s_waitcnt lgkmcnt(0)
	s_waitcnt_vscnt null, 0x0
	s_barrier
	buffer_gl0_inv
	ds_read_b128 v[0:3], v82 offset:9520
	ds_read_b128 v[4:7], v82 offset:7616
	s_clause 0x3
	buffer_load_dword v30, off, s[60:63], 0 offset:284
	buffer_load_dword v31, off, s[60:63], 0 offset:288
	;; [unrolled: 1-line block ×4, first 2 shown]
	ds_read_b128 v[8:11], v82 offset:19040
	ds_read_b128 v[12:15], v82 offset:20944
	s_clause 0x3
	buffer_load_dword v34, off, s[60:63], 0 offset:268
	buffer_load_dword v35, off, s[60:63], 0 offset:272
	;; [unrolled: 1-line block ×4, first 2 shown]
	s_mov_b32 s2, 0xe8584caa
	s_mov_b32 s3, 0xbfebb67a
	;; [unrolled: 1-line block ×9, first 2 shown]
	s_waitcnt vmcnt(4) lgkmcnt(3)
	v_mul_f64 v[16:17], v[32:33], v[2:3]
	v_mul_f64 v[18:19], v[32:33], v[0:1]
	s_waitcnt vmcnt(0) lgkmcnt(1)
	v_mul_f64 v[20:21], v[36:37], v[10:11]
	v_mul_f64 v[22:23], v[36:37], v[8:9]
	v_fma_f64 v[28:29], v[30:31], v[0:1], v[16:17]
	v_fma_f64 v[30:31], v[30:31], v[2:3], -v[18:19]
	ds_read_b128 v[0:3], v82 offset:11424
	ds_read_b128 v[16:19], v82 offset:13328
	s_clause 0xb
	buffer_load_dword v38, off, s[60:63], 0 offset:300
	buffer_load_dword v39, off, s[60:63], 0 offset:304
	;; [unrolled: 1-line block ×12, first 2 shown]
	v_fma_f64 v[20:21], v[34:35], v[8:9], v[20:21]
	v_fma_f64 v[22:23], v[34:35], v[10:11], -v[22:23]
	s_waitcnt vmcnt(8) lgkmcnt(1)
	v_mul_f64 v[32:33], v[40:41], v[2:3]
	v_mul_f64 v[8:9], v[40:41], v[0:1]
	s_waitcnt vmcnt(4)
	v_mul_f64 v[10:11], v[46:47], v[14:15]
	v_mul_f64 v[34:35], v[46:47], v[12:13]
	s_waitcnt vmcnt(0) lgkmcnt(0)
	v_mul_f64 v[36:37], v[50:51], v[18:19]
	v_mul_f64 v[40:41], v[50:51], v[16:17]
	v_fma_f64 v[32:33], v[38:39], v[0:1], v[32:33]
	v_fma_f64 v[38:39], v[38:39], v[2:3], -v[8:9]
	ds_read_b128 v[0:3], v82 offset:22848
	v_fma_f64 v[42:43], v[44:45], v[12:13], v[10:11]
	ds_read_b128 v[8:11], v82 offset:24752
	s_clause 0x3
	buffer_load_dword v50, off, s[60:63], 0 offset:220
	buffer_load_dword v51, off, s[60:63], 0 offset:224
	;; [unrolled: 1-line block ×4, first 2 shown]
	v_fma_f64 v[34:35], v[44:45], v[14:15], -v[34:35]
	v_fma_f64 v[36:37], v[48:49], v[16:17], v[36:37]
	v_fma_f64 v[40:41], v[48:49], v[18:19], -v[40:41]
	ds_read_b128 v[12:15], v82 offset:15232
	ds_read_b128 v[16:19], v82 offset:17136
	s_clause 0x3
	buffer_load_dword v54, off, s[60:63], 0 offset:236
	buffer_load_dword v55, off, s[60:63], 0 offset:240
	buffer_load_dword v56, off, s[60:63], 0 offset:244
	buffer_load_dword v57, off, s[60:63], 0 offset:248
	s_waitcnt vmcnt(4) lgkmcnt(3)
	v_mul_f64 v[44:45], v[52:53], v[2:3]
	v_mul_f64 v[46:47], v[52:53], v[0:1]
	s_waitcnt vmcnt(0) lgkmcnt(1)
	v_mul_f64 v[48:49], v[56:57], v[14:15]
	v_fma_f64 v[44:45], v[50:51], v[0:1], v[44:45]
	v_mul_f64 v[0:1], v[56:57], v[12:13]
	v_fma_f64 v[46:47], v[50:51], v[2:3], -v[46:47]
	s_clause 0x3
	buffer_load_dword v56, off, s[60:63], 0 offset:204
	buffer_load_dword v57, off, s[60:63], 0 offset:208
	;; [unrolled: 1-line block ×4, first 2 shown]
	v_fma_f64 v[48:49], v[54:55], v[12:13], v[48:49]
	v_fma_f64 v[54:55], v[54:55], v[14:15], -v[0:1]
	ds_read_b128 v[0:3], v82 offset:26656
	s_clause 0x3
	buffer_load_dword v62, off, s[60:63], 0 offset:188
	buffer_load_dword v63, off, s[60:63], 0 offset:192
	;; [unrolled: 1-line block ×4, first 2 shown]
	s_waitcnt vmcnt(4)
	v_mul_f64 v[50:51], v[58:59], v[10:11]
	v_mul_f64 v[52:53], v[58:59], v[8:9]
	s_waitcnt vmcnt(0) lgkmcnt(1)
	v_mul_f64 v[12:13], v[64:65], v[18:19]
	v_mul_f64 v[14:15], v[64:65], v[16:17]
	s_clause 0x3
	buffer_load_dword v64, off, s[60:63], 0 offset:172
	buffer_load_dword v65, off, s[60:63], 0 offset:176
	;; [unrolled: 1-line block ×4, first 2 shown]
	v_fma_f64 v[50:51], v[56:57], v[8:9], v[50:51]
	v_fma_f64 v[52:53], v[56:57], v[10:11], -v[52:53]
	v_fma_f64 v[60:61], v[62:63], v[16:17], v[12:13]
	v_add_f64 v[16:17], v[28:29], v[20:21]
	v_fma_f64 v[62:63], v[62:63], v[18:19], -v[14:15]
	ds_read_b128 v[8:11], v82
	ds_read_b128 v[12:15], v82 offset:1904
	v_add_f64 v[18:19], v[30:31], v[22:23]
	v_add_f64 v[104:105], v[48:49], v[50:51]
	s_waitcnt lgkmcnt(0)
	v_add_f64 v[68:69], v[12:13], v[32:33]
	v_fma_f64 v[70:71], v[16:17], -0.5, v[8:9]
	v_add_f64 v[16:17], v[36:37], v[44:45]
	v_fma_f64 v[92:93], v[18:19], -0.5, v[10:11]
	v_add_f64 v[18:19], v[14:15], v[38:39]
	s_waitcnt vmcnt(0)
	v_mul_f64 v[56:57], v[66:67], v[2:3]
	v_mul_f64 v[58:59], v[66:67], v[0:1]
	v_add_f64 v[66:67], v[10:11], v[30:31]
	v_add_f64 v[30:31], v[30:31], -v[22:23]
	v_fma_f64 v[56:57], v[64:65], v[0:1], v[56:57]
	v_fma_f64 v[58:59], v[64:65], v[2:3], -v[58:59]
	v_add_f64 v[0:1], v[32:33], v[42:43]
	v_add_f64 v[2:3], v[38:39], v[34:35]
	;; [unrolled: 1-line block ×3, first 2 shown]
	v_add_f64 v[38:39], v[38:39], -v[34:35]
	v_fma_f64 v[94:95], v[0:1], -0.5, v[12:13]
	v_fma_f64 v[96:97], v[2:3], -0.5, v[14:15]
	ds_read_b128 v[0:3], v82 offset:3808
	ds_read_b128 v[8:11], v82 offset:5712
	v_add_f64 v[12:13], v[40:41], v[46:47]
	v_add_f64 v[14:15], v[18:19], v[34:35]
	s_waitcnt lgkmcnt(0)
	s_barrier
	buffer_gl0_inv
	v_fma_f64 v[98:99], v[16:17], -0.5, v[0:1]
	v_add_f64 v[16:17], v[0:1], v[36:37]
	v_add_f64 v[0:1], v[64:65], v[20:21]
	v_add_f64 v[64:65], v[28:29], -v[20:21]
	v_fma_f64 v[100:101], v[12:13], -0.5, v[2:3]
	v_add_f64 v[102:103], v[2:3], v[40:41]
	v_add_f64 v[2:3], v[66:67], v[22:23]
	;; [unrolled: 1-line block ×3, first 2 shown]
	v_add_f64 v[42:43], v[32:33], -v[42:43]
	v_add_f64 v[66:67], v[40:41], -v[46:47]
	;; [unrolled: 1-line block ×3, first 2 shown]
	v_fma_f64 v[20:21], v[30:31], s[2:3], v[70:71]
	v_fma_f64 v[28:29], v[30:31], s[8:9], v[70:71]
	;; [unrolled: 1-line block ×4, first 2 shown]
	v_add_f64 v[70:71], v[48:49], -v[50:51]
	v_add_f64 v[16:17], v[16:17], v[44:45]
	v_fma_f64 v[22:23], v[64:65], s[8:9], v[92:93]
	v_fma_f64 v[30:31], v[64:65], s[2:3], v[92:93]
	v_add_f64 v[64:65], v[54:55], v[52:53]
	v_add_f64 v[18:19], v[102:103], v[46:47]
	v_fma_f64 v[34:35], v[42:43], s[8:9], v[96:97]
	v_fma_f64 v[38:39], v[42:43], s[2:3], v[96:97]
	;; [unrolled: 1-line block ×6, first 2 shown]
	v_add_f64 v[66:67], v[8:9], v[48:49]
	v_fma_f64 v[68:69], v[104:105], -0.5, v[8:9]
	v_fma_f64 v[64:65], v[64:65], -0.5, v[10:11]
	v_add_f64 v[10:11], v[10:11], v[54:55]
	v_add_f64 v[54:55], v[54:55], -v[52:53]
	v_add_f64 v[8:9], v[66:67], v[50:51]
	v_add_f64 v[66:67], v[62:63], v[58:59]
	v_fma_f64 v[50:51], v[70:71], s[8:9], v[64:65]
	v_add_f64 v[10:11], v[10:11], v[52:53]
	v_fma_f64 v[48:49], v[54:55], s[2:3], v[68:69]
	v_fma_f64 v[52:53], v[54:55], s[8:9], v[68:69]
	;; [unrolled: 1-line block ×3, first 2 shown]
	v_add_f64 v[64:65], v[60:61], v[56:57]
	v_add_f64 v[68:69], v[60:61], -v[56:57]
	v_fma_f64 v[66:67], v[66:67], -0.5, v[6:7]
	v_add_f64 v[6:7], v[6:7], v[62:63]
	v_add_f64 v[62:63], v[62:63], -v[58:59]
	v_fma_f64 v[64:65], v[64:65], -0.5, v[4:5]
	v_add_f64 v[4:5], v[4:5], v[60:61]
	v_add_f64 v[6:7], v[6:7], v[58:59]
	v_fma_f64 v[58:59], v[68:69], s[8:9], v[66:67]
	v_fma_f64 v[60:61], v[62:63], s[8:9], v[64:65]
	v_add_f64 v[4:5], v[4:5], v[56:57]
	v_fma_f64 v[56:57], v[62:63], s[2:3], v[64:65]
	buffer_load_dword v64, off, s[60:63], 0 offset:344 ; 4-byte Folded Reload
	v_fma_f64 v[62:63], v[68:69], s[2:3], v[66:67]
	s_mov_b32 s8, 0x4755a5e
	s_mov_b32 s9, 0xbfe2cf23
	;; [unrolled: 1-line block ×5, first 2 shown]
	s_waitcnt vmcnt(0)
	ds_write_b128 v64, v[0:3]
	ds_write_b128 v64, v[20:23] offset:272
	ds_write_b128 v64, v[28:31] offset:544
	buffer_load_dword v0, off, s[60:63], 0 offset:348 ; 4-byte Folded Reload
	s_waitcnt vmcnt(0)
	ds_write_b128 v0, v[12:15]
	ds_write_b128 v0, v[32:35] offset:272
	ds_write_b128 v0, v[36:39] offset:544
	buffer_load_dword v0, off, s[60:63], 0 offset:336 ; 4-byte Folded Reload
	;; [unrolled: 5-line block ×4, first 2 shown]
	s_waitcnt vmcnt(0)
	ds_write_b128 v0, v[4:7]
	ds_write_b128 v0, v[56:59] offset:272
	ds_write_b128 v0, v[60:63] offset:544
	s_waitcnt lgkmcnt(0)
	s_barrier
	buffer_gl0_inv
	ds_read_b128 v[0:3], v82 offset:11424
	ds_read_b128 v[4:7], v82 offset:17136
	ds_read_b128 v[8:11], v82 offset:5712
	ds_read_b128 v[12:15], v82 offset:22848
	ds_read_b128 v[16:19], v82 offset:13328
	s_clause 0x3
	buffer_load_dword v64, off, s[60:63], 0 offset:124
	buffer_load_dword v65, off, s[60:63], 0 offset:128
	;; [unrolled: 1-line block ×4, first 2 shown]
	ds_read_b128 v[20:23], v82 offset:15232
	s_clause 0x3
	buffer_load_dword v68, off, s[60:63], 0 offset:156
	buffer_load_dword v69, off, s[60:63], 0 offset:160
	;; [unrolled: 1-line block ×4, first 2 shown]
	ds_read_b128 v[28:31], v82 offset:19040
	ds_read_b128 v[32:35], v82 offset:24752
	;; [unrolled: 1-line block ×4, first 2 shown]
	s_clause 0x7
	buffer_load_dword v92, off, s[60:63], 0 offset:76
	buffer_load_dword v93, off, s[60:63], 0 offset:80
	;; [unrolled: 1-line block ×8, first 2 shown]
	s_waitcnt lgkmcnt(4)
	v_mul_f64 v[102:103], v[26:27], v[22:23]
	v_mul_f64 v[26:27], v[26:27], v[20:21]
	v_fma_f64 v[20:21], v[24:25], v[20:21], v[102:103]
	v_fma_f64 v[22:23], v[24:25], v[22:23], -v[26:27]
	s_waitcnt vmcnt(12)
	v_mul_f64 v[44:45], v[66:67], v[2:3]
	v_mul_f64 v[48:49], v[66:67], v[0:1]
	s_waitcnt vmcnt(8)
	v_mul_f64 v[46:47], v[70:71], v[6:7]
	v_mul_f64 v[50:51], v[70:71], v[4:5]
	s_waitcnt vmcnt(4)
	v_mul_f64 v[52:53], v[94:95], v[10:11]
	s_waitcnt vmcnt(0)
	v_mul_f64 v[54:55], v[98:99], v[14:15]
	v_mul_f64 v[56:57], v[94:95], v[8:9]
	;; [unrolled: 1-line block ×3, first 2 shown]
	s_waitcnt lgkmcnt(3)
	v_mul_f64 v[70:71], v[78:79], v[30:31]
	s_waitcnt lgkmcnt(2)
	v_mul_f64 v[98:99], v[74:75], v[34:35]
	v_mul_f64 v[78:79], v[78:79], v[28:29]
	;; [unrolled: 1-line block ×3, first 2 shown]
	v_fma_f64 v[60:61], v[64:65], v[0:1], v[44:45]
	v_fma_f64 v[48:49], v[64:65], v[2:3], -v[48:49]
	v_fma_f64 v[62:63], v[68:69], v[4:5], v[46:47]
	v_fma_f64 v[50:51], v[68:69], v[6:7], -v[50:51]
	ds_read_b128 v[0:3], v82 offset:9520
	ds_read_b128 v[4:7], v82 offset:20944
	s_clause 0x7
	buffer_load_dword v108, off, s[60:63], 0 offset:108
	buffer_load_dword v109, off, s[60:63], 0 offset:112
	;; [unrolled: 1-line block ×8, first 2 shown]
	v_fma_f64 v[52:53], v[92:93], v[8:9], v[52:53]
	v_fma_f64 v[54:55], v[96:97], v[12:13], v[54:55]
	v_fma_f64 v[56:57], v[92:93], v[10:11], -v[56:57]
	v_fma_f64 v[58:59], v[96:97], v[14:15], -v[58:59]
	ds_read_b128 v[8:11], v82
	ds_read_b128 v[12:15], v82 offset:1904
	ds_read_b128 v[44:47], v82 offset:26656
	s_clause 0x7
	buffer_load_dword v160, off, s[60:63], 0 offset:368
	buffer_load_dword v161, off, s[60:63], 0 offset:372
	;; [unrolled: 1-line block ×8, first 2 shown]
	v_fma_f64 v[28:29], v[76:77], v[28:29], v[70:71]
	v_fma_f64 v[32:33], v[72:73], v[32:33], v[98:99]
	v_fma_f64 v[30:31], v[76:77], v[30:31], -v[78:79]
	v_fma_f64 v[34:35], v[72:73], v[34:35], -v[74:75]
	s_waitcnt vmcnt(0) lgkmcnt(0)
	s_barrier
	buffer_gl0_inv
	v_mul_f64 v[100:101], v[86:87], v[2:3]
	v_add_f64 v[92:93], v[60:61], v[62:63]
	v_add_f64 v[96:97], v[48:49], v[50:51]
	v_mul_f64 v[86:87], v[86:87], v[0:1]
	v_add_f64 v[74:75], v[48:49], -v[50:51]
	v_add_f64 v[98:99], v[60:61], -v[62:63]
	;; [unrolled: 1-line block ×3, first 2 shown]
	v_add_f64 v[72:73], v[56:57], v[58:59]
	v_fma_f64 v[0:1], v[84:85], v[0:1], v[100:101]
	v_fma_f64 v[70:71], v[92:93], -0.5, v[8:9]
	v_fma_f64 v[96:97], v[96:97], -0.5, v[10:11]
	v_fma_f64 v[2:3], v[84:85], v[2:3], -v[86:87]
	v_add_f64 v[84:85], v[54:55], -v[62:63]
	v_add_f64 v[100:101], v[56:57], -v[48:49]
	;; [unrolled: 1-line block ×3, first 2 shown]
	v_mul_f64 v[64:65], v[110:111], v[42:43]
	v_mul_f64 v[66:67], v[110:111], v[40:41]
	;; [unrolled: 1-line block ×4, first 2 shown]
	v_add_f64 v[106:107], v[52:53], -v[54:55]
	v_mul_f64 v[92:93], v[162:163], v[6:7]
	v_mul_f64 v[76:77], v[114:115], v[44:45]
	v_fma_f64 v[40:41], v[108:109], v[40:41], v[64:65]
	v_fma_f64 v[42:43], v[108:109], v[42:43], -v[66:67]
	v_fma_f64 v[64:65], v[104:105], v[16:17], v[68:69]
	v_add_f64 v[16:17], v[52:53], v[54:55]
	v_add_f64 v[66:67], v[8:9], v[52:53]
	v_add_f64 v[68:69], v[56:57], -v[58:59]
	v_fma_f64 v[94:95], v[104:105], v[18:19], -v[94:95]
	v_add_f64 v[104:105], v[10:11], v[56:57]
	v_mul_f64 v[18:19], v[162:163], v[4:5]
	v_fma_f64 v[26:27], v[160:161], v[4:5], v[92:93]
	v_add_f64 v[4:5], v[60:61], -v[52:53]
	v_mul_f64 v[108:109], v[114:115], v[46:47]
	v_fma_f64 v[110:111], v[106:107], s[18:19], v[96:97]
	v_fma_f64 v[10:11], v[72:73], -0.5, v[10:11]
	v_add_f64 v[72:73], v[78:79], v[84:85]
	v_fma_f64 v[46:47], v[112:113], v[46:47], -v[76:77]
	v_add_f64 v[114:115], v[0:1], -v[20:21]
	v_add_f64 v[24:25], v[40:41], v[32:33]
	v_add_f64 v[52:53], v[12:13], v[40:41]
	;; [unrolled: 1-line block ×3, first 2 shown]
	v_fma_f64 v[8:9], v[16:17], -0.5, v[8:9]
	v_add_f64 v[16:17], v[66:67], v[60:61]
	v_fma_f64 v[66:67], v[68:69], s[16:17], v[70:71]
	v_fma_f64 v[70:71], v[68:69], s[18:19], v[70:71]
	v_add_f64 v[102:103], v[104:105], v[48:49]
	v_add_f64 v[104:105], v[58:59], -v[50:51]
	v_fma_f64 v[92:93], v[160:161], v[6:7], -v[18:19]
	v_fma_f64 v[6:7], v[106:107], s[16:17], v[96:97]
	v_add_f64 v[18:19], v[62:63], -v[54:55]
	v_add_f64 v[60:61], v[42:43], -v[34:35]
	v_fma_f64 v[44:45], v[112:113], v[44:45], v[108:109]
	v_fma_f64 v[76:77], v[98:99], s[10:11], v[110:111]
	;; [unrolled: 1-line block ×3, first 2 shown]
	v_add_f64 v[108:109], v[34:35], -v[30:31]
	v_add_f64 v[52:53], v[52:53], v[64:65]
	v_fma_f64 v[78:79], v[86:87], -0.5, v[12:13]
	v_fma_f64 v[84:85], v[74:75], s[18:19], v[8:9]
	v_fma_f64 v[8:9], v[74:75], s[16:17], v[8:9]
	v_add_f64 v[16:17], v[16:17], v[62:63]
	v_fma_f64 v[62:63], v[74:75], s[8:9], v[66:67]
	v_fma_f64 v[66:67], v[74:75], s[10:11], v[70:71]
	v_add_f64 v[70:71], v[102:103], v[50:51]
	v_add_f64 v[74:75], v[100:101], v[104:105]
	v_add_f64 v[86:87], v[94:95], -v[30:31]
	v_fma_f64 v[12:13], v[24:25], -0.5, v[12:13]
	v_add_f64 v[24:25], v[48:49], -v[56:57]
	v_add_f64 v[48:49], v[50:51], -v[58:59]
	v_add_f64 v[50:51], v[94:95], v[30:31]
	v_add_f64 v[100:101], v[42:43], v[34:35]
	v_fma_f64 v[56:57], v[98:99], s[8:9], v[6:7]
	v_add_f64 v[102:103], v[4:5], v[18:19]
	v_fma_f64 v[98:99], v[98:99], s[18:19], v[10:11]
	v_add_f64 v[160:161], v[44:45], -v[26:27]
	v_add_f64 v[170:171], v[92:93], -v[46:47]
	v_add_f64 v[52:53], v[52:53], v[28:29]
	v_fma_f64 v[104:105], v[60:61], s[16:17], v[78:79]
	v_fma_f64 v[84:85], v[68:69], s[8:9], v[84:85]
	;; [unrolled: 1-line block ×3, first 2 shown]
	v_add_f64 v[4:5], v[16:17], v[54:55]
	v_fma_f64 v[8:9], v[72:73], s[2:3], v[62:63]
	v_fma_f64 v[16:17], v[72:73], s[2:3], v[66:67]
	v_add_f64 v[54:55], v[40:41], -v[64:65]
	v_add_f64 v[62:63], v[32:33], -v[28:29]
	v_add_f64 v[6:7], v[70:71], v[58:59]
	v_fma_f64 v[66:67], v[60:61], s[18:19], v[78:79]
	v_fma_f64 v[70:71], v[86:87], s[18:19], v[12:13]
	v_add_f64 v[72:73], v[64:65], -v[40:41]
	v_add_f64 v[78:79], v[28:29], -v[32:33]
	v_add_f64 v[24:25], v[24:25], v[48:49]
	v_add_f64 v[48:49], v[14:15], v[42:43]
	v_fma_f64 v[50:51], v[50:51], -0.5, v[14:15]
	v_add_f64 v[28:29], v[64:65], -v[28:29]
	v_fma_f64 v[14:15], v[100:101], -0.5, v[14:15]
	v_fma_f64 v[12:13], v[86:87], s[16:17], v[12:13]
	v_add_f64 v[58:59], v[20:21], v[26:27]
	v_fma_f64 v[10:11], v[74:75], s[2:3], v[76:77]
	v_add_f64 v[76:77], v[0:1], v[44:45]
	v_fma_f64 v[18:19], v[74:75], s[2:3], v[56:57]
	v_fma_f64 v[56:57], v[106:107], s[10:11], v[96:97]
	v_add_f64 v[74:75], v[22:23], v[92:93]
	v_add_f64 v[96:97], v[2:3], v[46:47]
	v_add_f64 v[40:41], v[40:41], -v[32:33]
	v_fma_f64 v[64:65], v[86:87], s[8:9], v[104:105]
	v_add_f64 v[100:101], v[2:3], -v[46:47]
	v_add_f64 v[54:55], v[54:55], v[62:63]
	v_add_f64 v[62:63], v[36:37], v[0:1]
	v_fma_f64 v[66:67], v[86:87], s[10:11], v[66:67]
	v_fma_f64 v[70:71], v[60:61], s[8:9], v[70:71]
	v_add_f64 v[86:87], v[20:21], -v[26:27]
	v_add_f64 v[72:73], v[72:73], v[78:79]
	v_add_f64 v[78:79], v[0:1], -v[44:45]
	v_add_f64 v[0:1], v[20:21], -v[0:1]
	v_add_f64 v[48:49], v[48:49], v[94:95]
	v_add_f64 v[104:105], v[22:23], -v[92:93]
	v_fma_f64 v[110:111], v[28:29], s[16:17], v[14:15]
	v_fma_f64 v[14:15], v[28:29], s[18:19], v[14:15]
	;; [unrolled: 1-line block ×3, first 2 shown]
	v_fma_f64 v[58:59], v[58:59], -0.5, v[36:37]
	v_fma_f64 v[36:37], v[76:77], -0.5, v[36:37]
	v_add_f64 v[76:77], v[38:39], v[2:3]
	v_fma_f64 v[12:13], v[102:103], s[2:3], v[84:85]
	v_fma_f64 v[74:75], v[74:75], -0.5, v[38:39]
	v_fma_f64 v[38:39], v[96:97], -0.5, v[38:39]
	v_fma_f64 v[96:97], v[40:41], s[18:19], v[50:51]
	v_fma_f64 v[50:51], v[40:41], s[16:17], v[50:51]
	;; [unrolled: 1-line block ×3, first 2 shown]
	v_add_f64 v[106:107], v[42:43], -v[94:95]
	v_add_f64 v[62:63], v[62:63], v[20:21]
	v_fma_f64 v[20:21], v[102:103], s[2:3], v[68:69]
	v_add_f64 v[42:43], v[94:95], -v[42:43]
	v_add_f64 v[94:95], v[30:31], -v[34:35]
	;; [unrolled: 1-line block ×3, first 2 shown]
	v_add_f64 v[102:103], v[114:115], v[160:161]
	v_add_f64 v[30:31], v[48:49], v[30:31]
	v_add_f64 v[48:49], v[46:47], -v[92:93]
	v_fma_f64 v[68:69], v[40:41], s[10:11], v[110:111]
	v_fma_f64 v[84:85], v[40:41], s[8:9], v[14:15]
	;; [unrolled: 1-line block ×3, first 2 shown]
	buffer_load_dword v60, off, s[60:63], 0 offset:384 ; 4-byte Folded Reload
	v_fma_f64 v[112:113], v[100:101], s[16:17], v[58:59]
	v_add_f64 v[76:77], v[76:77], v[22:23]
	v_fma_f64 v[58:59], v[100:101], s[18:19], v[58:59]
	v_fma_f64 v[166:167], v[78:79], s[18:19], v[74:75]
	;; [unrolled: 1-line block ×3, first 2 shown]
	v_add_f64 v[22:23], v[26:27], -v[44:45]
	v_fma_f64 v[168:169], v[86:87], s[16:17], v[38:39]
	v_fma_f64 v[36:37], v[104:105], s[16:17], v[36:37]
	;; [unrolled: 1-line block ×4, first 2 shown]
	v_add_f64 v[106:107], v[106:107], v[108:109]
	v_fma_f64 v[96:97], v[28:29], s[10:11], v[96:97]
	v_add_f64 v[42:43], v[42:43], v[94:95]
	v_fma_f64 v[50:51], v[28:29], s[8:9], v[50:51]
	v_add_f64 v[62:63], v[62:63], v[26:27]
	v_add_f64 v[2:3], v[2:3], v[170:171]
	v_fma_f64 v[14:15], v[24:25], s[2:3], v[56:57]
	v_add_f64 v[110:111], v[164:165], v[48:49]
	v_add_f64 v[26:27], v[30:31], v[34:35]
	v_fma_f64 v[28:29], v[54:55], s[2:3], v[64:65]
	v_fma_f64 v[94:95], v[104:105], s[8:9], v[112:113]
	v_add_f64 v[76:77], v[76:77], v[92:93]
	v_fma_f64 v[58:59], v[104:105], s[10:11], v[58:59]
	v_fma_f64 v[92:93], v[86:87], s[10:11], v[166:167]
	;; [unrolled: 1-line block ×3, first 2 shown]
	v_add_f64 v[108:109], v[0:1], v[22:23]
	v_fma_f64 v[112:113], v[78:79], s[10:11], v[168:169]
	v_fma_f64 v[100:101], v[100:101], s[10:11], v[36:37]
	;; [unrolled: 1-line block ×5, first 2 shown]
	v_add_f64 v[24:25], v[52:53], v[32:33]
	v_fma_f64 v[30:31], v[106:107], s[2:3], v[96:97]
	v_fma_f64 v[36:37], v[72:73], s[2:3], v[70:71]
	;; [unrolled: 1-line block ×6, first 2 shown]
	v_add_f64 v[44:45], v[62:63], v[44:45]
	v_fma_f64 v[48:49], v[102:103], s[2:3], v[94:95]
	v_add_f64 v[46:47], v[76:77], v[46:47]
	v_fma_f64 v[0:1], v[102:103], s[2:3], v[58:59]
	v_fma_f64 v[50:51], v[110:111], s[2:3], v[92:93]
	;; [unrolled: 1-line block ×7, first 2 shown]
	s_waitcnt vmcnt(0)
	ds_write_b128 v60, v[4:7]
	ds_write_b128 v60, v[8:11] offset:816
	ds_write_b128 v60, v[12:15] offset:1632
	ds_write_b128 v60, v[20:23] offset:2448
	ds_write_b128 v60, v[16:19] offset:3264
	ds_write_b128 v81, v[24:27]
	ds_write_b128 v81, v[28:31] offset:816
	ds_write_b128 v81, v[36:39] offset:1632
	ds_write_b128 v81, v[40:43] offset:2448
	ds_write_b128 v81, v[32:35] offset:3264
	;; [unrolled: 5-line block ×3, first 2 shown]
	s_waitcnt lgkmcnt(0)
	s_barrier
	buffer_gl0_inv
	ds_read_b128 v[8:11], v82
	ds_read_b128 v[4:7], v82 offset:1904
	ds_read_b128 v[44:47], v82 offset:4080
	;; [unrolled: 1-line block ×13, first 2 shown]
	s_and_saveexec_b32 s1, s0
	s_cbranch_execz .LBB0_19
; %bb.18:
	ds_read_b128 v[0:3], v82 offset:3808
	ds_read_b128 v[180:183], v82 offset:7888
	;; [unrolled: 1-line block ×4, first 2 shown]
	s_waitcnt lgkmcnt(0)
	buffer_store_dword v60, off, s[60:63], 0 offset:12 ; 4-byte Folded Spill
	buffer_store_dword v61, off, s[60:63], 0 offset:16 ; 4-byte Folded Spill
	buffer_store_dword v62, off, s[60:63], 0 offset:20 ; 4-byte Folded Spill
	buffer_store_dword v63, off, s[60:63], 0 offset:24 ; 4-byte Folded Spill
	ds_read_b128 v[60:63], v82 offset:20128
	s_waitcnt lgkmcnt(0)
	buffer_store_dword v60, off, s[60:63], 0 offset:28 ; 4-byte Folded Spill
	buffer_store_dword v61, off, s[60:63], 0 offset:32 ; 4-byte Folded Spill
	buffer_store_dword v62, off, s[60:63], 0 offset:36 ; 4-byte Folded Spill
	buffer_store_dword v63, off, s[60:63], 0 offset:40 ; 4-byte Folded Spill
	ds_read_b128 v[60:63], v82 offset:24208
	;; [unrolled: 6-line block ×3, first 2 shown]
	s_waitcnt lgkmcnt(0)
	buffer_store_dword v60, off, s[60:63], 0 offset:60 ; 4-byte Folded Spill
	buffer_store_dword v61, off, s[60:63], 0 offset:64 ; 4-byte Folded Spill
	;; [unrolled: 1-line block ×4, first 2 shown]
.LBB0_19:
	s_or_b32 exec_lo, exec_lo, s1
	s_waitcnt lgkmcnt(11)
	v_mul_f64 v[60:61], v[90:91], v[46:47]
	v_mul_f64 v[62:63], v[90:91], v[44:45]
	s_waitcnt lgkmcnt(9)
	v_mul_f64 v[64:65], v[150:151], v[50:51]
	v_mul_f64 v[66:67], v[150:151], v[48:49]
	s_waitcnt lgkmcnt(1)
	v_mul_f64 v[68:69], v[158:159], v[58:59]
	v_mul_f64 v[70:71], v[158:159], v[56:57]
	v_mul_f64 v[72:73], v[154:155], v[54:55]
	v_mul_f64 v[74:75], v[154:155], v[52:53]
	v_mul_f64 v[76:77], v[122:123], v[38:39]
	v_mul_f64 v[83:84], v[126:127], v[42:43]
	v_mul_f64 v[78:79], v[122:123], v[36:37]
	v_mul_f64 v[85:86], v[126:127], v[40:41]
	v_mul_f64 v[90:91], v[118:119], v[26:27]
	v_mul_f64 v[92:93], v[118:119], v[24:25]
	s_waitcnt lgkmcnt(0)
	v_mul_f64 v[94:95], v[146:147], v[32:33]
	s_mov_b32 s10, 0x37e14327
	s_mov_b32 s2, 0x36b3c0b5
	;; [unrolled: 1-line block ×7, first 2 shown]
	v_fma_f64 v[44:45], v[88:89], v[44:45], v[60:61]
	v_fma_f64 v[46:47], v[88:89], v[46:47], -v[62:63]
	v_fma_f64 v[48:49], v[148:149], v[48:49], v[64:65]
	v_fma_f64 v[50:51], v[148:149], v[50:51], -v[66:67]
	;; [unrolled: 2-line block ×4, first 2 shown]
	v_mul_f64 v[60:61], v[138:139], v[22:23]
	v_mul_f64 v[72:73], v[142:143], v[30:31]
	;; [unrolled: 1-line block ×5, first 2 shown]
	v_fma_f64 v[36:37], v[120:121], v[36:37], v[76:77]
	v_fma_f64 v[40:41], v[124:125], v[40:41], v[83:84]
	v_mul_f64 v[64:65], v[134:135], v[14:15]
	v_mul_f64 v[66:67], v[134:135], v[12:13]
	;; [unrolled: 1-line block ×4, first 2 shown]
	v_fma_f64 v[38:39], v[120:121], v[38:39], -v[78:79]
	v_fma_f64 v[42:43], v[124:125], v[42:43], -v[85:86]
	v_fma_f64 v[24:25], v[116:117], v[24:25], v[90:91]
	v_fma_f64 v[26:27], v[116:117], v[26:27], -v[92:93]
	v_fma_f64 v[34:35], v[144:145], v[34:35], -v[94:95]
	s_mov_b32 s19, 0x3fe77f67
	s_mov_b32 s23, 0xbfe77f67
	v_add_f64 v[76:77], v[44:45], v[56:57]
	v_add_f64 v[78:79], v[46:47], v[58:59]
	;; [unrolled: 1-line block ×4, first 2 shown]
	v_fma_f64 v[20:21], v[136:137], v[20:21], v[60:61]
	v_fma_f64 v[28:29], v[140:141], v[28:29], v[72:73]
	;; [unrolled: 1-line block ×3, first 2 shown]
	v_fma_f64 v[22:23], v[136:137], v[22:23], -v[62:63]
	v_fma_f64 v[30:31], v[140:141], v[30:31], -v[74:75]
	v_add_f64 v[48:49], v[48:49], -v[52:53]
	v_add_f64 v[60:61], v[36:37], v[40:41]
	v_fma_f64 v[12:13], v[132:133], v[12:13], v[64:65]
	v_fma_f64 v[14:15], v[132:133], v[14:15], -v[66:67]
	v_fma_f64 v[16:17], v[128:129], v[16:17], v[68:69]
	v_fma_f64 v[18:19], v[128:129], v[18:19], -v[70:71]
	v_add_f64 v[36:37], v[40:41], -v[36:37]
	v_add_f64 v[62:63], v[38:39], v[42:43]
	v_add_f64 v[40:41], v[44:45], -v[56:57]
	v_add_f64 v[38:39], v[42:43], -v[38:39]
	;; [unrolled: 1-line block ×3, first 2 shown]
	v_add_f64 v[46:47], v[26:27], v[34:35]
	v_add_f64 v[26:27], v[26:27], -v[34:35]
	v_add_f64 v[50:51], v[50:51], -v[54:55]
	s_mov_b32 s22, s18
	v_add_f64 v[64:65], v[83:84], v[76:77]
	v_add_f64 v[72:73], v[85:86], v[78:79]
	v_add_f64 v[66:67], v[85:86], -v[78:79]
	s_mov_b32 s8, 0x429ad128
	v_add_f64 v[44:45], v[24:25], v[32:33]
	v_add_f64 v[24:25], v[24:25], -v[32:33]
	v_add_f64 v[32:33], v[20:21], v[28:29]
	v_add_f64 v[34:35], v[22:23], v[30:31]
	v_add_f64 v[52:53], v[76:77], -v[60:61]
	v_add_f64 v[56:57], v[60:61], -v[83:84]
	;; [unrolled: 1-line block ×4, first 2 shown]
	v_add_f64 v[30:31], v[12:13], v[16:17]
	v_add_f64 v[12:13], v[16:17], -v[12:13]
	v_add_f64 v[54:55], v[78:79], -v[62:63]
	;; [unrolled: 1-line block ×4, first 2 shown]
	v_add_f64 v[68:69], v[36:37], v[48:49]
	v_add_f64 v[48:49], v[48:49], -v[40:41]
	v_add_f64 v[36:37], v[40:41], -v[36:37]
	v_add_f64 v[70:71], v[38:39], v[50:51]
	s_mov_b32 s16, 0xaaaaaaaa
	v_add_f64 v[28:29], v[60:61], v[64:65]
	v_add_f64 v[60:61], v[62:63], v[72:73]
	;; [unrolled: 1-line block ×3, first 2 shown]
	v_add_f64 v[14:15], v[18:19], -v[14:15]
	v_add_f64 v[64:65], v[83:84], -v[76:77]
	;; [unrolled: 1-line block ×3, first 2 shown]
	v_add_f64 v[72:73], v[32:33], v[44:45]
	v_add_f64 v[74:75], v[34:35], v[46:47]
	v_mul_f64 v[52:53], v[52:53], s[10:11]
	v_mul_f64 v[76:77], v[56:57], s[2:3]
	v_add_f64 v[50:51], v[50:51], -v[42:43]
	s_mov_b32 s24, 0xb247c609
	v_add_f64 v[83:84], v[44:45], -v[30:31]
	v_add_f64 v[87:88], v[30:31], -v[32:33]
	v_mul_f64 v[54:55], v[54:55], s[10:11]
	v_mul_f64 v[78:79], v[58:59], s[2:3]
	;; [unrolled: 1-line block ×3, first 2 shown]
	v_add_f64 v[91:92], v[12:13], -v[20:21]
	s_mov_b32 s9, 0xbfebfeb5
	s_mov_b32 s17, 0xbff2aaaa
	;; [unrolled: 1-line block ×3, first 2 shown]
	v_add_f64 v[38:39], v[42:43], -v[38:39]
	v_add_f64 v[8:9], v[8:9], v[28:29]
	v_add_f64 v[10:11], v[10:11], v[60:61]
	v_add_f64 v[85:86], v[46:47], -v[62:63]
	v_add_f64 v[93:94], v[14:15], -v[22:23]
	;; [unrolled: 1-line block ×3, first 2 shown]
	v_mul_f64 v[18:19], v[18:19], s[20:21]
	v_add_f64 v[30:31], v[30:31], v[72:73]
	v_add_f64 v[62:63], v[62:63], v[74:75]
	v_fma_f64 v[56:57], v[56:57], s[2:3], v[52:53]
	v_fma_f64 v[72:73], v[64:65], s[18:19], -v[76:77]
	v_fma_f64 v[52:53], v[64:65], s[22:23], -v[52:53]
	v_add_f64 v[64:65], v[20:21], -v[24:25]
	v_add_f64 v[76:77], v[22:23], -v[26:27]
	v_add_f64 v[40:41], v[68:69], v[40:41]
	v_mul_f64 v[68:69], v[48:49], s[8:9]
	v_fma_f64 v[58:59], v[58:59], s[2:3], v[54:55]
	v_fma_f64 v[74:75], v[66:67], s[18:19], -v[78:79]
	v_fma_f64 v[54:55], v[66:67], s[22:23], -v[54:55]
	v_fma_f64 v[66:67], v[36:37], s[24:25], v[16:17]
	v_fma_f64 v[16:17], v[48:49], s[8:9], -v[16:17]
	v_add_f64 v[32:33], v[32:33], -v[44:45]
	v_add_f64 v[34:35], v[34:35], -v[46:47]
	v_fma_f64 v[28:29], v[28:29], s[16:17], v[8:9]
	v_fma_f64 v[60:61], v[60:61], s[16:17], v[10:11]
	v_add_f64 v[20:21], v[12:13], v[20:21]
	v_add_f64 v[22:23], v[14:15], v[22:23]
	v_mul_f64 v[46:47], v[85:86], s[10:11]
	v_mul_f64 v[48:49], v[87:88], s[2:3]
	v_add_f64 v[4:5], v[4:5], v[30:31]
	v_mul_f64 v[85:86], v[93:94], s[20:21]
	v_add_f64 v[42:43], v[70:71], v[42:43]
	;; [unrolled: 2-line block ×3, first 2 shown]
	v_mul_f64 v[44:45], v[83:84], s[10:11]
	v_mul_f64 v[83:84], v[89:90], s[2:3]
	v_add_f64 v[12:13], v[24:25], -v[12:13]
	v_add_f64 v[14:15], v[26:27], -v[14:15]
	v_mul_f64 v[91:92], v[91:92], s[20:21]
	v_mul_f64 v[93:94], v[76:77], s[8:9]
	v_mul_f64 v[95:96], v[64:65], s[8:9]
	v_fma_f64 v[78:79], v[38:39], s[24:25], v[18:19]
	s_mov_b32 s27, 0x3fd5d0dc
	s_mov_b32 s26, s24
	v_fma_f64 v[18:19], v[50:51], s[8:9], -v[18:19]
	v_add_f64 v[50:51], v[56:57], v[28:29]
	v_add_f64 v[56:57], v[58:59], v[60:61]
	;; [unrolled: 1-line block ×5, first 2 shown]
	v_fma_f64 v[48:49], v[32:33], s[18:19], -v[48:49]
	v_fma_f64 v[24:25], v[30:31], s[16:17], v[4:5]
	v_fma_f64 v[72:73], v[76:77], s[8:9], -v[85:86]
	v_fma_f64 v[36:37], v[36:37], s[26:27], -v[68:69]
	;; [unrolled: 1-line block ×3, first 2 shown]
	v_fma_f64 v[26:27], v[62:63], s[16:17], v[6:7]
	v_fma_f64 v[30:31], v[87:88], s[2:3], v[44:45]
	;; [unrolled: 1-line block ×3, first 2 shown]
	v_fma_f64 v[70:71], v[34:35], s[18:19], -v[83:84]
	v_fma_f64 v[32:33], v[32:33], s[22:23], -v[44:45]
	;; [unrolled: 1-line block ×3, first 2 shown]
	v_fma_f64 v[44:45], v[14:15], s[24:25], v[85:86]
	v_fma_f64 v[46:47], v[12:13], s[24:25], v[91:92]
	v_fma_f64 v[14:15], v[14:15], s[26:27], -v[93:94]
	v_fma_f64 v[12:13], v[12:13], s[26:27], -v[95:96]
	;; [unrolled: 1-line block ×3, first 2 shown]
	s_mov_b32 s28, 0x37c3f68c
	s_mov_b32 s29, 0xbfdc38aa
	v_add_f64 v[68:69], v[74:75], v[60:61]
	v_add_f64 v[28:29], v[52:53], v[28:29]
	;; [unrolled: 1-line block ×3, first 2 shown]
	v_fma_f64 v[54:55], v[42:43], s[28:29], v[78:79]
	v_fma_f64 v[60:61], v[40:41], s[28:29], v[66:67]
	v_add_f64 v[48:49], v[48:49], v[24:25]
	v_fma_f64 v[72:73], v[22:23], s[28:29], v[72:73]
	v_fma_f64 v[36:37], v[40:41], s[28:29], v[36:37]
	;; [unrolled: 1-line block ×5, first 2 shown]
	v_add_f64 v[66:67], v[30:31], v[24:25]
	v_add_f64 v[62:63], v[62:63], v[26:27]
	;; [unrolled: 1-line block ×4, first 2 shown]
	v_fma_f64 v[78:79], v[22:23], s[28:29], v[44:45]
	v_fma_f64 v[83:84], v[20:21], s[28:29], v[46:47]
	;; [unrolled: 1-line block ×4, first 2 shown]
	v_add_f64 v[70:71], v[70:71], v[26:27]
	v_fma_f64 v[64:65], v[20:21], s[28:29], v[64:65]
	v_add_f64 v[12:13], v[54:55], v[50:51]
	v_add_f64 v[14:15], v[56:57], -v[60:61]
	v_add_f64 v[32:33], v[50:51], -v[54:55]
	;; [unrolled: 1-line block ×3, first 2 shown]
	v_add_f64 v[48:49], v[72:73], v[48:49]
	v_add_f64 v[16:17], v[38:39], v[28:29]
	v_add_f64 v[18:19], v[52:53], -v[36:37]
	v_add_f64 v[20:21], v[58:59], -v[42:43]
	v_add_f64 v[22:23], v[40:41], v[68:69]
	v_add_f64 v[24:25], v[42:43], v[58:59]
	v_add_f64 v[26:27], v[68:69], -v[40:41]
	v_add_f64 v[28:29], v[28:29], -v[38:39]
	v_add_f64 v[30:31], v[36:37], v[52:53]
	v_add_f64 v[34:35], v[60:61], v[56:57]
	v_add_f64 v[36:37], v[78:79], v[66:67]
	v_add_f64 v[38:39], v[62:63], -v[83:84]
	v_add_f64 v[40:41], v[85:86], v[74:75]
	v_add_f64 v[42:43], v[76:77], -v[87:88]
	v_add_f64 v[46:47], v[64:65], v[70:71]
	v_add_f64 v[50:51], v[70:71], -v[64:65]
	v_add_f64 v[52:53], v[74:75], -v[85:86]
	v_add_f64 v[54:55], v[87:88], v[76:77]
	v_add_f64 v[56:57], v[66:67], -v[78:79]
	v_add_f64 v[58:59], v[83:84], v[62:63]
	ds_write_b128 v82, v[8:11]
	ds_write_b128 v82, v[12:15] offset:4080
	ds_write_b128 v82, v[16:19] offset:8160
	;; [unrolled: 1-line block ×13, first 2 shown]
	s_mov_b32 s1, exec_lo
	buffer_load_dword v48, off, s[60:63], 0 offset:8 ; 4-byte Folded Reload
	s_and_b32 s0, s1, s0
	s_mov_b32 exec_lo, s0
	s_cbranch_execz .LBB0_21
; %bb.20:
	s_clause 0x17
	buffer_load_dword v49, off, s[60:63], 0 offset:468
	buffer_load_dword v50, off, s[60:63], 0 offset:472
	;; [unrolled: 1-line block ×24, first 2 shown]
	s_waitcnt vmcnt(18)
	v_mul_f64 v[4:5], v[51:52], v[59:60]
	s_waitcnt vmcnt(12)
	v_mul_f64 v[6:7], v[30:31], v[180:181]
	;; [unrolled: 2-line block ×3, first 2 shown]
	v_mul_f64 v[12:13], v[30:31], v[182:183]
	v_mul_f64 v[14:15], v[51:52], v[61:62]
	s_waitcnt vmcnt(4)
	v_mul_f64 v[18:19], v[44:45], v[57:58]
	s_clause 0xf
	buffer_load_dword v30, off, s[60:63], 0 offset:404
	buffer_load_dword v31, off, s[60:63], 0 offset:408
	;; [unrolled: 1-line block ×16, first 2 shown]
	s_waitcnt vmcnt(16)
	v_mul_f64 v[10:11], v[40:41], v[176:177]
	v_mul_f64 v[16:17], v[40:41], v[178:179]
	v_fma_f64 v[4:5], v[49:50], v[61:62], -v[4:5]
	v_fma_f64 v[6:7], v[28:29], v[182:183], -v[6:7]
	;; [unrolled: 1-line block ×3, first 2 shown]
	v_fma_f64 v[12:13], v[28:29], v[180:181], v[12:13]
	v_fma_f64 v[14:15], v[49:50], v[59:60], v[14:15]
	;; [unrolled: 1-line block ×3, first 2 shown]
	v_fma_f64 v[10:11], v[38:39], v[178:179], -v[10:11]
	v_fma_f64 v[16:17], v[38:39], v[176:177], v[16:17]
	v_add_f64 v[28:29], v[6:7], v[4:5]
	v_add_f64 v[4:5], v[6:7], -v[4:5]
	s_waitcnt vmcnt(8)
	v_mul_f64 v[20:21], v[32:33], v[53:54]
	s_waitcnt vmcnt(0)
	v_mul_f64 v[22:23], v[36:37], v[46:47]
	v_mul_f64 v[24:25], v[36:37], v[44:45]
	;; [unrolled: 1-line block ×3, first 2 shown]
	v_add_f64 v[32:33], v[12:13], v[14:15]
	v_add_f64 v[12:13], v[12:13], -v[14:15]
	v_fma_f64 v[20:21], v[30:31], v[51:52], v[20:21]
	v_fma_f64 v[22:23], v[34:35], v[44:45], v[22:23]
	v_fma_f64 v[24:25], v[34:35], v[46:47], -v[24:25]
	v_fma_f64 v[26:27], v[30:31], v[53:54], -v[26:27]
	v_add_f64 v[30:31], v[10:11], v[8:9]
	v_add_f64 v[34:35], v[16:17], v[18:19]
	v_add_f64 v[16:17], v[16:17], -v[18:19]
	v_add_f64 v[8:9], v[10:11], -v[8:9]
	;; [unrolled: 1-line block ×3, first 2 shown]
	v_add_f64 v[20:21], v[22:23], v[20:21]
	v_add_f64 v[18:19], v[24:25], v[26:27]
	;; [unrolled: 1-line block ×3, first 2 shown]
	v_add_f64 v[22:23], v[26:27], -v[24:25]
	v_add_f64 v[6:7], v[34:35], v[32:33]
	v_add_f64 v[38:39], v[16:17], -v[12:13]
	v_add_f64 v[42:43], v[8:9], -v[4:5]
	;; [unrolled: 1-line block ×5, first 2 shown]
	v_add_f64 v[14:15], v[18:19], v[14:15]
	v_add_f64 v[18:19], v[18:19], -v[30:31]
	v_add_f64 v[40:41], v[22:23], -v[8:9]
	v_add_f64 v[6:7], v[20:21], v[6:7]
	v_add_f64 v[20:21], v[20:21], -v[34:35]
	v_add_f64 v[44:45], v[12:13], -v[36:37]
	v_add_f64 v[16:17], v[36:37], v[16:17]
	v_add_f64 v[8:9], v[22:23], v[8:9]
	v_mul_f64 v[36:37], v[38:39], s[8:9]
	v_add_f64 v[22:23], v[4:5], -v[22:23]
	v_add_f64 v[28:29], v[30:31], -v[28:29]
	v_mul_f64 v[46:47], v[42:43], s[8:9]
	v_add_f64 v[32:33], v[34:35], -v[32:33]
	v_mul_f64 v[10:11], v[10:11], s[20:21]
	v_mul_f64 v[26:27], v[26:27], s[10:11]
	;; [unrolled: 1-line block ×3, first 2 shown]
	v_add_f64 v[2:3], v[2:3], v[14:15]
	v_mul_f64 v[30:31], v[18:19], s[2:3]
	v_mul_f64 v[40:41], v[40:41], s[20:21]
	v_add_f64 v[0:1], v[0:1], v[6:7]
	v_mul_f64 v[34:35], v[20:21], s[2:3]
	v_add_f64 v[12:13], v[16:17], v[12:13]
	v_add_f64 v[4:5], v[8:9], v[4:5]
	v_fma_f64 v[8:9], v[44:45], s[24:25], v[10:11]
	v_fma_f64 v[10:11], v[38:39], s[8:9], -v[10:11]
	v_fma_f64 v[16:17], v[18:19], s[2:3], v[24:25]
	v_fma_f64 v[18:19], v[20:21], s[2:3], v[26:27]
	v_fma_f64 v[20:21], v[44:45], s[26:27], -v[36:37]
	v_fma_f64 v[14:15], v[14:15], s[16:17], v[2:3]
	v_fma_f64 v[24:25], v[28:29], s[22:23], -v[24:25]
	v_fma_f64 v[28:29], v[28:29], s[18:19], -v[30:31]
	v_fma_f64 v[30:31], v[22:23], s[24:25], v[40:41]
	v_fma_f64 v[22:23], v[22:23], s[26:27], -v[46:47]
	v_fma_f64 v[36:37], v[42:43], s[8:9], -v[40:41]
	v_fma_f64 v[6:7], v[6:7], s[16:17], v[0:1]
	v_fma_f64 v[26:27], v[32:33], s[22:23], -v[26:27]
	v_fma_f64 v[32:33], v[32:33], s[18:19], -v[34:35]
	v_fma_f64 v[8:9], v[12:13], s[28:29], v[8:9]
	v_fma_f64 v[20:21], v[12:13], s[28:29], v[20:21]
	v_add_f64 v[16:17], v[16:17], v[14:15]
	v_add_f64 v[24:25], v[24:25], v[14:15]
	v_fma_f64 v[12:13], v[12:13], s[28:29], v[10:11]
	v_fma_f64 v[30:31], v[4:5], s[28:29], v[30:31]
	;; [unrolled: 1-line block ×4, first 2 shown]
	v_add_f64 v[36:37], v[18:19], v[6:7]
	v_add_f64 v[38:39], v[26:27], v[6:7]
	;; [unrolled: 1-line block ×4, first 2 shown]
	v_add_f64 v[26:27], v[16:17], -v[8:9]
	v_add_f64 v[10:11], v[20:21], v[24:25]
	v_add_f64 v[22:23], v[24:25], -v[20:21]
	v_add_f64 v[6:7], v[8:9], v[16:17]
	v_add_f64 v[24:25], v[30:31], v[36:37]
	;; [unrolled: 1-line block ×4, first 2 shown]
	v_add_f64 v[16:17], v[32:33], -v[4:5]
	v_add_f64 v[14:15], v[28:29], -v[12:13]
	v_add_f64 v[12:13], v[4:5], v[32:33]
	v_add_f64 v[8:9], v[38:39], -v[34:35]
	v_add_f64 v[4:5], v[36:37], -v[30:31]
	ds_write_b128 v82, v[0:3] offset:3808
	ds_write_b128 v82, v[24:27] offset:7888
	;; [unrolled: 1-line block ×7, first 2 shown]
.LBB0_21:
	s_or_b32 exec_lo, exec_lo, s1
	s_waitcnt vmcnt(0) lgkmcnt(0)
	s_waitcnt_vscnt null, 0x0
	s_barrier
	buffer_gl0_inv
	s_and_b32 exec_lo, exec_lo, vcc_lo
	s_cbranch_execz .LBB0_23
; %bb.22:
	global_load_dwordx4 v[0:3], v80, s[12:13]
	ds_read_b128 v[4:7], v82
	ds_read_b128 v[8:11], v80 offset:1680
	ds_read_b128 v[12:15], v80 offset:26880
	s_clause 0x1
	buffer_load_dword v18, off, s[60:63], 0
	buffer_load_dword v19, off, s[60:63], 0 offset:4
	s_mov_b32 s0, 0x125b8012
	s_mov_b32 s1, 0x3f425b80
	s_mul_i32 s3, s4, 0x690
	s_waitcnt vmcnt(2) lgkmcnt(2)
	v_mul_f64 v[16:17], v[6:7], v[2:3]
	v_mul_f64 v[2:3], v[4:5], v[2:3]
	s_waitcnt vmcnt(1)
	v_mov_b32_e32 v20, v18
	s_waitcnt vmcnt(0)
	v_mad_u64_u32 v[18:19], null, s6, v20, 0
	v_fma_f64 v[4:5], v[4:5], v[0:1], v[16:17]
	v_fma_f64 v[2:3], v[0:1], v[6:7], -v[2:3]
	v_mad_u64_u32 v[6:7], null, s4, v48, 0
	v_mov_b32_e32 v0, v19
	v_mov_b32_e32 v1, v7
	v_mad_u64_u32 v[16:17], null, s7, v20, v[0:1]
	v_mov_b32_e32 v19, v16
	v_mad_u64_u32 v[20:21], null, s5, v48, v[1:2]
	v_mul_f64 v[0:1], v[4:5], s[0:1]
	v_mul_f64 v[2:3], v[2:3], s[0:1]
	v_lshlrev_b64 v[4:5], 4, v[18:19]
	v_mov_b32_e32 v7, v20
	v_add_co_u32 v20, s2, s12, v80
	v_add_co_u32 v4, vcc_lo, s14, v4
	v_lshlrev_b64 v[6:7], 4, v[6:7]
	v_add_co_ci_u32_e32 v5, vcc_lo, s15, v5, vcc_lo
	v_add_co_ci_u32_e64 v21, null, s13, 0, s2
	s_mul_i32 s2, s5, 0x690
	v_add_co_u32 v4, vcc_lo, v4, v6
	v_add_co_ci_u32_e32 v5, vcc_lo, v5, v7, vcc_lo
	s_mul_hi_u32 s5, s4, 0x690
	v_add_co_u32 v16, vcc_lo, v4, s3
	global_store_dwordx4 v[4:5], v[0:3], off
	global_load_dwordx4 v[0:3], v80, s[12:13] offset:1680
	s_add_i32 s2, s5, s2
	v_add_co_ci_u32_e32 v17, vcc_lo, s2, v5, vcc_lo
	v_add_co_u32 v4, vcc_lo, 0x800, v20
	v_add_co_ci_u32_e32 v5, vcc_lo, 0, v21, vcc_lo
	s_waitcnt vmcnt(0) lgkmcnt(1)
	v_mul_f64 v[6:7], v[10:11], v[2:3]
	v_mul_f64 v[2:3], v[8:9], v[2:3]
	v_fma_f64 v[6:7], v[8:9], v[0:1], v[6:7]
	v_fma_f64 v[2:3], v[0:1], v[10:11], -v[2:3]
	v_mul_f64 v[0:1], v[6:7], s[0:1]
	v_mul_f64 v[2:3], v[2:3], s[0:1]
	global_store_dwordx4 v[16:17], v[0:3], off
	global_load_dwordx4 v[0:3], v[4:5], off offset:1312
	ds_read_b128 v[4:7], v80 offset:3360
	ds_read_b128 v[8:11], v80 offset:5040
	s_waitcnt vmcnt(0) lgkmcnt(1)
	v_mul_f64 v[18:19], v[6:7], v[2:3]
	v_mul_f64 v[2:3], v[4:5], v[2:3]
	v_fma_f64 v[4:5], v[4:5], v[0:1], v[18:19]
	v_fma_f64 v[2:3], v[0:1], v[6:7], -v[2:3]
	v_mul_f64 v[0:1], v[4:5], s[0:1]
	v_mul_f64 v[2:3], v[2:3], s[0:1]
	v_add_co_u32 v4, vcc_lo, v16, s3
	v_add_co_ci_u32_e32 v5, vcc_lo, s2, v17, vcc_lo
	v_add_co_u32 v6, vcc_lo, 0x1000, v20
	v_add_co_ci_u32_e32 v7, vcc_lo, 0, v21, vcc_lo
	;; [unrolled: 2-line block ×3, first 2 shown]
	global_store_dwordx4 v[4:5], v[0:3], off
	global_load_dwordx4 v[0:3], v[6:7], off offset:944
	v_add_co_u32 v4, vcc_lo, 0x1800, v20
	v_add_co_ci_u32_e32 v5, vcc_lo, 0, v21, vcc_lo
	s_waitcnt vmcnt(0) lgkmcnt(0)
	v_mul_f64 v[6:7], v[10:11], v[2:3]
	v_mul_f64 v[2:3], v[8:9], v[2:3]
	v_fma_f64 v[6:7], v[8:9], v[0:1], v[6:7]
	v_fma_f64 v[2:3], v[0:1], v[10:11], -v[2:3]
	v_mul_f64 v[0:1], v[6:7], s[0:1]
	v_mul_f64 v[2:3], v[2:3], s[0:1]
	global_store_dwordx4 v[16:17], v[0:3], off
	global_load_dwordx4 v[0:3], v[4:5], off offset:576
	ds_read_b128 v[4:7], v80 offset:6720
	ds_read_b128 v[8:11], v80 offset:8400
	s_waitcnt vmcnt(0) lgkmcnt(1)
	v_mul_f64 v[18:19], v[6:7], v[2:3]
	v_mul_f64 v[2:3], v[4:5], v[2:3]
	v_fma_f64 v[4:5], v[4:5], v[0:1], v[18:19]
	v_fma_f64 v[2:3], v[0:1], v[6:7], -v[2:3]
	v_mul_f64 v[0:1], v[4:5], s[0:1]
	v_mul_f64 v[2:3], v[2:3], s[0:1]
	v_add_co_u32 v4, vcc_lo, v16, s3
	v_add_co_ci_u32_e32 v5, vcc_lo, s2, v17, vcc_lo
	v_add_co_u32 v6, vcc_lo, 0x2000, v20
	v_add_co_ci_u32_e32 v7, vcc_lo, 0, v21, vcc_lo
	global_store_dwordx4 v[4:5], v[0:3], off
	global_load_dwordx4 v[0:3], v[6:7], off offset:208
	s_waitcnt vmcnt(0) lgkmcnt(0)
	v_mul_f64 v[16:17], v[10:11], v[2:3]
	v_mul_f64 v[2:3], v[8:9], v[2:3]
	v_fma_f64 v[8:9], v[8:9], v[0:1], v[16:17]
	v_fma_f64 v[2:3], v[0:1], v[10:11], -v[2:3]
	v_add_co_u32 v16, vcc_lo, v4, s3
	v_add_co_ci_u32_e32 v17, vcc_lo, s2, v5, vcc_lo
	v_mul_f64 v[0:1], v[8:9], s[0:1]
	v_mul_f64 v[2:3], v[2:3], s[0:1]
	global_store_dwordx4 v[16:17], v[0:3], off
	global_load_dwordx4 v[0:3], v[6:7], off offset:1888
	ds_read_b128 v[4:7], v80 offset:10080
	ds_read_b128 v[8:11], v80 offset:11760
	s_waitcnt vmcnt(0) lgkmcnt(1)
	v_mul_f64 v[18:19], v[6:7], v[2:3]
	v_mul_f64 v[2:3], v[4:5], v[2:3]
	v_fma_f64 v[4:5], v[4:5], v[0:1], v[18:19]
	v_fma_f64 v[2:3], v[0:1], v[6:7], -v[2:3]
	v_mul_f64 v[0:1], v[4:5], s[0:1]
	v_mul_f64 v[2:3], v[2:3], s[0:1]
	v_add_co_u32 v4, vcc_lo, v16, s3
	v_add_co_ci_u32_e32 v5, vcc_lo, s2, v17, vcc_lo
	v_add_co_u32 v6, vcc_lo, 0x2800, v20
	v_add_co_ci_u32_e32 v7, vcc_lo, 0, v21, vcc_lo
	;; [unrolled: 2-line block ×3, first 2 shown]
	global_store_dwordx4 v[4:5], v[0:3], off
	global_load_dwordx4 v[0:3], v[6:7], off offset:1520
	v_add_co_u32 v4, vcc_lo, 0x3000, v20
	v_add_co_ci_u32_e32 v5, vcc_lo, 0, v21, vcc_lo
	s_waitcnt vmcnt(0) lgkmcnt(0)
	v_mul_f64 v[6:7], v[10:11], v[2:3]
	v_mul_f64 v[2:3], v[8:9], v[2:3]
	v_fma_f64 v[6:7], v[8:9], v[0:1], v[6:7]
	v_fma_f64 v[2:3], v[0:1], v[10:11], -v[2:3]
	v_mul_f64 v[0:1], v[6:7], s[0:1]
	v_mul_f64 v[2:3], v[2:3], s[0:1]
	global_store_dwordx4 v[16:17], v[0:3], off
	global_load_dwordx4 v[0:3], v[4:5], off offset:1152
	ds_read_b128 v[4:7], v80 offset:13440
	ds_read_b128 v[8:11], v80 offset:15120
	s_waitcnt vmcnt(0) lgkmcnt(1)
	v_mul_f64 v[18:19], v[6:7], v[2:3]
	v_mul_f64 v[2:3], v[4:5], v[2:3]
	v_fma_f64 v[4:5], v[4:5], v[0:1], v[18:19]
	v_fma_f64 v[2:3], v[0:1], v[6:7], -v[2:3]
	v_mul_f64 v[0:1], v[4:5], s[0:1]
	v_mul_f64 v[2:3], v[2:3], s[0:1]
	v_add_co_u32 v4, vcc_lo, v16, s3
	v_add_co_ci_u32_e32 v5, vcc_lo, s2, v17, vcc_lo
	v_add_co_u32 v6, vcc_lo, 0x3800, v20
	v_add_co_ci_u32_e32 v7, vcc_lo, 0, v21, vcc_lo
	;; [unrolled: 2-line block ×3, first 2 shown]
	global_store_dwordx4 v[4:5], v[0:3], off
	global_load_dwordx4 v[0:3], v[6:7], off offset:784
	v_add_co_u32 v4, vcc_lo, 0x4000, v20
	v_add_co_ci_u32_e32 v5, vcc_lo, 0, v21, vcc_lo
	s_waitcnt vmcnt(0) lgkmcnt(0)
	v_mul_f64 v[6:7], v[10:11], v[2:3]
	v_mul_f64 v[2:3], v[8:9], v[2:3]
	v_fma_f64 v[6:7], v[8:9], v[0:1], v[6:7]
	v_fma_f64 v[2:3], v[0:1], v[10:11], -v[2:3]
	v_mul_f64 v[0:1], v[6:7], s[0:1]
	v_mul_f64 v[2:3], v[2:3], s[0:1]
	global_store_dwordx4 v[16:17], v[0:3], off
	global_load_dwordx4 v[0:3], v[4:5], off offset:416
	ds_read_b128 v[4:7], v80 offset:16800
	ds_read_b128 v[8:11], v80 offset:18480
	s_waitcnt vmcnt(0) lgkmcnt(1)
	v_mul_f64 v[18:19], v[6:7], v[2:3]
	v_mul_f64 v[2:3], v[4:5], v[2:3]
	v_fma_f64 v[4:5], v[4:5], v[0:1], v[18:19]
	v_fma_f64 v[2:3], v[0:1], v[6:7], -v[2:3]
	v_mul_f64 v[0:1], v[4:5], s[0:1]
	v_mul_f64 v[2:3], v[2:3], s[0:1]
	v_add_co_u32 v4, vcc_lo, v16, s3
	v_add_co_ci_u32_e32 v5, vcc_lo, s2, v17, vcc_lo
	v_add_co_u32 v6, vcc_lo, 0x4800, v20
	v_add_co_ci_u32_e32 v7, vcc_lo, 0, v21, vcc_lo
	global_store_dwordx4 v[4:5], v[0:3], off
	global_load_dwordx4 v[0:3], v[6:7], off offset:48
	s_waitcnt vmcnt(0) lgkmcnt(0)
	v_mul_f64 v[16:17], v[10:11], v[2:3]
	v_mul_f64 v[2:3], v[8:9], v[2:3]
	v_fma_f64 v[8:9], v[8:9], v[0:1], v[16:17]
	v_fma_f64 v[2:3], v[0:1], v[10:11], -v[2:3]
	v_add_co_u32 v16, vcc_lo, v4, s3
	v_add_co_ci_u32_e32 v17, vcc_lo, s2, v5, vcc_lo
	v_mul_f64 v[0:1], v[8:9], s[0:1]
	v_mul_f64 v[2:3], v[2:3], s[0:1]
	global_store_dwordx4 v[16:17], v[0:3], off
	global_load_dwordx4 v[0:3], v[6:7], off offset:1728
	ds_read_b128 v[4:7], v80 offset:20160
	ds_read_b128 v[8:11], v80 offset:21840
	s_waitcnt vmcnt(0) lgkmcnt(1)
	v_mul_f64 v[18:19], v[6:7], v[2:3]
	v_mul_f64 v[2:3], v[4:5], v[2:3]
	v_fma_f64 v[4:5], v[4:5], v[0:1], v[18:19]
	v_fma_f64 v[2:3], v[0:1], v[6:7], -v[2:3]
	v_mul_f64 v[0:1], v[4:5], s[0:1]
	v_mul_f64 v[2:3], v[2:3], s[0:1]
	v_add_co_u32 v4, vcc_lo, v16, s3
	v_add_co_ci_u32_e32 v5, vcc_lo, s2, v17, vcc_lo
	v_add_co_u32 v6, vcc_lo, 0x5000, v20
	v_add_co_ci_u32_e32 v7, vcc_lo, 0, v21, vcc_lo
	;; [unrolled: 2-line block ×3, first 2 shown]
	global_store_dwordx4 v[4:5], v[0:3], off
	global_load_dwordx4 v[0:3], v[6:7], off offset:1360
	v_add_co_u32 v4, vcc_lo, 0x5800, v20
	v_add_co_ci_u32_e32 v5, vcc_lo, 0, v21, vcc_lo
	s_waitcnt vmcnt(0) lgkmcnt(0)
	v_mul_f64 v[6:7], v[10:11], v[2:3]
	v_mul_f64 v[2:3], v[8:9], v[2:3]
	v_fma_f64 v[6:7], v[8:9], v[0:1], v[6:7]
	v_fma_f64 v[2:3], v[0:1], v[10:11], -v[2:3]
	v_mul_f64 v[0:1], v[6:7], s[0:1]
	v_mul_f64 v[2:3], v[2:3], s[0:1]
	global_store_dwordx4 v[16:17], v[0:3], off
	global_load_dwordx4 v[0:3], v[4:5], off offset:992
	ds_read_b128 v[4:7], v80 offset:23520
	ds_read_b128 v[8:11], v80 offset:25200
	s_waitcnt vmcnt(0) lgkmcnt(1)
	v_mul_f64 v[18:19], v[6:7], v[2:3]
	v_mul_f64 v[2:3], v[4:5], v[2:3]
	v_fma_f64 v[4:5], v[4:5], v[0:1], v[18:19]
	v_fma_f64 v[2:3], v[0:1], v[6:7], -v[2:3]
	v_mul_f64 v[0:1], v[4:5], s[0:1]
	v_mul_f64 v[2:3], v[2:3], s[0:1]
	v_add_co_u32 v4, vcc_lo, v16, s3
	v_add_co_ci_u32_e32 v5, vcc_lo, s2, v17, vcc_lo
	v_add_co_u32 v6, vcc_lo, 0x6000, v20
	v_add_co_ci_u32_e32 v7, vcc_lo, 0, v21, vcc_lo
	global_store_dwordx4 v[4:5], v[0:3], off
	global_load_dwordx4 v[0:3], v[6:7], off offset:624
	v_add_co_u32 v4, vcc_lo, v4, s3
	v_add_co_ci_u32_e32 v5, vcc_lo, s2, v5, vcc_lo
	s_waitcnt vmcnt(0) lgkmcnt(0)
	v_mul_f64 v[6:7], v[10:11], v[2:3]
	v_mul_f64 v[2:3], v[8:9], v[2:3]
	v_fma_f64 v[6:7], v[8:9], v[0:1], v[6:7]
	v_fma_f64 v[2:3], v[0:1], v[10:11], -v[2:3]
	v_mul_f64 v[0:1], v[6:7], s[0:1]
	v_mul_f64 v[2:3], v[2:3], s[0:1]
	v_add_co_u32 v6, vcc_lo, 0x6800, v20
	v_add_co_ci_u32_e32 v7, vcc_lo, 0, v21, vcc_lo
	global_store_dwordx4 v[4:5], v[0:3], off
	global_load_dwordx4 v[0:3], v[6:7], off offset:256
	v_add_co_u32 v4, vcc_lo, v4, s3
	v_add_co_ci_u32_e32 v5, vcc_lo, s2, v5, vcc_lo
	s_waitcnt vmcnt(0)
	v_mul_f64 v[6:7], v[14:15], v[2:3]
	v_mul_f64 v[2:3], v[12:13], v[2:3]
	v_fma_f64 v[6:7], v[12:13], v[0:1], v[6:7]
	v_fma_f64 v[2:3], v[0:1], v[14:15], -v[2:3]
	v_mul_f64 v[0:1], v[6:7], s[0:1]
	v_mul_f64 v[2:3], v[2:3], s[0:1]
	global_store_dwordx4 v[4:5], v[0:3], off
.LBB0_23:
	s_endpgm
	.section	.rodata,"a",@progbits
	.p2align	6, 0x0
	.amdhsa_kernel bluestein_single_back_len1785_dim1_dp_op_CI_CI
		.amdhsa_group_segment_fixed_size 28560
		.amdhsa_private_segment_fixed_size 680
		.amdhsa_kernarg_size 104
		.amdhsa_user_sgpr_count 6
		.amdhsa_user_sgpr_private_segment_buffer 1
		.amdhsa_user_sgpr_dispatch_ptr 0
		.amdhsa_user_sgpr_queue_ptr 0
		.amdhsa_user_sgpr_kernarg_segment_ptr 1
		.amdhsa_user_sgpr_dispatch_id 0
		.amdhsa_user_sgpr_flat_scratch_init 0
		.amdhsa_user_sgpr_private_segment_size 0
		.amdhsa_wavefront_size32 1
		.amdhsa_uses_dynamic_stack 0
		.amdhsa_system_sgpr_private_segment_wavefront_offset 1
		.amdhsa_system_sgpr_workgroup_id_x 1
		.amdhsa_system_sgpr_workgroup_id_y 0
		.amdhsa_system_sgpr_workgroup_id_z 0
		.amdhsa_system_sgpr_workgroup_info 0
		.amdhsa_system_vgpr_workitem_id 0
		.amdhsa_next_free_vgpr 256
		.amdhsa_next_free_sgpr 64
		.amdhsa_reserve_vcc 1
		.amdhsa_reserve_flat_scratch 0
		.amdhsa_float_round_mode_32 0
		.amdhsa_float_round_mode_16_64 0
		.amdhsa_float_denorm_mode_32 3
		.amdhsa_float_denorm_mode_16_64 3
		.amdhsa_dx10_clamp 1
		.amdhsa_ieee_mode 1
		.amdhsa_fp16_overflow 0
		.amdhsa_workgroup_processor_mode 1
		.amdhsa_memory_ordered 1
		.amdhsa_forward_progress 0
		.amdhsa_shared_vgpr_count 0
		.amdhsa_exception_fp_ieee_invalid_op 0
		.amdhsa_exception_fp_denorm_src 0
		.amdhsa_exception_fp_ieee_div_zero 0
		.amdhsa_exception_fp_ieee_overflow 0
		.amdhsa_exception_fp_ieee_underflow 0
		.amdhsa_exception_fp_ieee_inexact 0
		.amdhsa_exception_int_div_zero 0
	.end_amdhsa_kernel
	.text
.Lfunc_end0:
	.size	bluestein_single_back_len1785_dim1_dp_op_CI_CI, .Lfunc_end0-bluestein_single_back_len1785_dim1_dp_op_CI_CI
                                        ; -- End function
	.section	.AMDGPU.csdata,"",@progbits
; Kernel info:
; codeLenInByte = 35804
; NumSgprs: 66
; NumVgprs: 256
; ScratchSize: 680
; MemoryBound: 0
; FloatMode: 240
; IeeeMode: 1
; LDSByteSize: 28560 bytes/workgroup (compile time only)
; SGPRBlocks: 8
; VGPRBlocks: 31
; NumSGPRsForWavesPerEU: 66
; NumVGPRsForWavesPerEU: 256
; Occupancy: 4
; WaveLimiterHint : 1
; COMPUTE_PGM_RSRC2:SCRATCH_EN: 1
; COMPUTE_PGM_RSRC2:USER_SGPR: 6
; COMPUTE_PGM_RSRC2:TRAP_HANDLER: 0
; COMPUTE_PGM_RSRC2:TGID_X_EN: 1
; COMPUTE_PGM_RSRC2:TGID_Y_EN: 0
; COMPUTE_PGM_RSRC2:TGID_Z_EN: 0
; COMPUTE_PGM_RSRC2:TIDIG_COMP_CNT: 0
	.text
	.p2alignl 6, 3214868480
	.fill 48, 4, 3214868480
	.type	__hip_cuid_23c4804a38756a7f,@object ; @__hip_cuid_23c4804a38756a7f
	.section	.bss,"aw",@nobits
	.globl	__hip_cuid_23c4804a38756a7f
__hip_cuid_23c4804a38756a7f:
	.byte	0                               ; 0x0
	.size	__hip_cuid_23c4804a38756a7f, 1

	.ident	"AMD clang version 19.0.0git (https://github.com/RadeonOpenCompute/llvm-project roc-6.4.0 25133 c7fe45cf4b819c5991fe208aaa96edf142730f1d)"
	.section	".note.GNU-stack","",@progbits
	.addrsig
	.addrsig_sym __hip_cuid_23c4804a38756a7f
	.amdgpu_metadata
---
amdhsa.kernels:
  - .args:
      - .actual_access:  read_only
        .address_space:  global
        .offset:         0
        .size:           8
        .value_kind:     global_buffer
      - .actual_access:  read_only
        .address_space:  global
        .offset:         8
        .size:           8
        .value_kind:     global_buffer
      - .actual_access:  read_only
        .address_space:  global
        .offset:         16
        .size:           8
        .value_kind:     global_buffer
      - .actual_access:  read_only
        .address_space:  global
        .offset:         24
        .size:           8
        .value_kind:     global_buffer
      - .actual_access:  read_only
        .address_space:  global
        .offset:         32
        .size:           8
        .value_kind:     global_buffer
      - .offset:         40
        .size:           8
        .value_kind:     by_value
      - .address_space:  global
        .offset:         48
        .size:           8
        .value_kind:     global_buffer
      - .address_space:  global
        .offset:         56
        .size:           8
        .value_kind:     global_buffer
      - .address_space:  global
        .offset:         64
        .size:           8
        .value_kind:     global_buffer
      - .address_space:  global
        .offset:         72
        .size:           8
        .value_kind:     global_buffer
      - .offset:         80
        .size:           4
        .value_kind:     by_value
      - .address_space:  global
        .offset:         88
        .size:           8
        .value_kind:     global_buffer
      - .address_space:  global
        .offset:         96
        .size:           8
        .value_kind:     global_buffer
    .group_segment_fixed_size: 28560
    .kernarg_segment_align: 8
    .kernarg_segment_size: 104
    .language:       OpenCL C
    .language_version:
      - 2
      - 0
    .max_flat_workgroup_size: 119
    .name:           bluestein_single_back_len1785_dim1_dp_op_CI_CI
    .private_segment_fixed_size: 680
    .sgpr_count:     66
    .sgpr_spill_count: 0
    .symbol:         bluestein_single_back_len1785_dim1_dp_op_CI_CI.kd
    .uniform_work_group_size: 1
    .uses_dynamic_stack: false
    .vgpr_count:     256
    .vgpr_spill_count: 187
    .wavefront_size: 32
    .workgroup_processor_mode: 1
amdhsa.target:   amdgcn-amd-amdhsa--gfx1030
amdhsa.version:
  - 1
  - 2
...

	.end_amdgpu_metadata
